;; amdgpu-corpus repo=ROCm/rocFFT kind=compiled arch=gfx906 opt=O3
	.text
	.amdgcn_target "amdgcn-amd-amdhsa--gfx906"
	.amdhsa_code_object_version 6
	.protected	fft_rtc_back_len3000_factors_10_3_10_10_wgs_100_tpt_100_halfLds_sp_ip_CI_sbrr_dirReg ; -- Begin function fft_rtc_back_len3000_factors_10_3_10_10_wgs_100_tpt_100_halfLds_sp_ip_CI_sbrr_dirReg
	.globl	fft_rtc_back_len3000_factors_10_3_10_10_wgs_100_tpt_100_halfLds_sp_ip_CI_sbrr_dirReg
	.p2align	8
	.type	fft_rtc_back_len3000_factors_10_3_10_10_wgs_100_tpt_100_halfLds_sp_ip_CI_sbrr_dirReg,@function
fft_rtc_back_len3000_factors_10_3_10_10_wgs_100_tpt_100_halfLds_sp_ip_CI_sbrr_dirReg: ; @fft_rtc_back_len3000_factors_10_3_10_10_wgs_100_tpt_100_halfLds_sp_ip_CI_sbrr_dirReg
; %bb.0:
	s_load_dwordx2 s[14:15], s[4:5], 0x18
	s_load_dwordx4 s[8:11], s[4:5], 0x0
	s_load_dwordx2 s[12:13], s[4:5], 0x50
	v_mul_u32_u24_e32 v1, 0x290, v0
	v_add_u32_sdwa v5, s6, v1 dst_sel:DWORD dst_unused:UNUSED_PAD src0_sel:DWORD src1_sel:WORD_1
	s_waitcnt lgkmcnt(0)
	s_load_dwordx2 s[2:3], s[14:15], 0x0
	v_cmp_lt_u64_e64 s[0:1], s[10:11], 2
	v_mov_b32_e32 v3, 0
	v_mov_b32_e32 v1, 0
	;; [unrolled: 1-line block ×3, first 2 shown]
	s_and_b64 vcc, exec, s[0:1]
	v_mov_b32_e32 v2, 0
	s_cbranch_vccnz .LBB0_8
; %bb.1:
	s_load_dwordx2 s[0:1], s[4:5], 0x10
	s_add_u32 s6, s14, 8
	s_addc_u32 s7, s15, 0
	v_mov_b32_e32 v1, 0
	v_mov_b32_e32 v2, 0
	s_waitcnt lgkmcnt(0)
	s_add_u32 s16, s0, 8
	s_addc_u32 s17, s1, 0
	s_mov_b64 s[18:19], 1
.LBB0_2:                                ; =>This Inner Loop Header: Depth=1
	s_load_dwordx2 s[20:21], s[16:17], 0x0
                                        ; implicit-def: $vgpr7_vgpr8
	s_waitcnt lgkmcnt(0)
	v_or_b32_e32 v4, s21, v6
	v_cmp_ne_u64_e32 vcc, 0, v[3:4]
	s_and_saveexec_b64 s[0:1], vcc
	s_xor_b64 s[22:23], exec, s[0:1]
	s_cbranch_execz .LBB0_4
; %bb.3:                                ;   in Loop: Header=BB0_2 Depth=1
	v_cvt_f32_u32_e32 v4, s20
	v_cvt_f32_u32_e32 v7, s21
	s_sub_u32 s0, 0, s20
	s_subb_u32 s1, 0, s21
	v_mac_f32_e32 v4, 0x4f800000, v7
	v_rcp_f32_e32 v4, v4
	v_mul_f32_e32 v4, 0x5f7ffffc, v4
	v_mul_f32_e32 v7, 0x2f800000, v4
	v_trunc_f32_e32 v7, v7
	v_mac_f32_e32 v4, 0xcf800000, v7
	v_cvt_u32_f32_e32 v7, v7
	v_cvt_u32_f32_e32 v4, v4
	v_mul_lo_u32 v8, s0, v7
	v_mul_hi_u32 v9, s0, v4
	v_mul_lo_u32 v11, s1, v4
	v_mul_lo_u32 v10, s0, v4
	v_add_u32_e32 v8, v9, v8
	v_add_u32_e32 v8, v8, v11
	v_mul_hi_u32 v9, v4, v10
	v_mul_lo_u32 v11, v4, v8
	v_mul_hi_u32 v13, v4, v8
	v_mul_hi_u32 v12, v7, v10
	v_mul_lo_u32 v10, v7, v10
	v_mul_hi_u32 v14, v7, v8
	v_add_co_u32_e32 v9, vcc, v9, v11
	v_addc_co_u32_e32 v11, vcc, 0, v13, vcc
	v_mul_lo_u32 v8, v7, v8
	v_add_co_u32_e32 v9, vcc, v9, v10
	v_addc_co_u32_e32 v9, vcc, v11, v12, vcc
	v_addc_co_u32_e32 v10, vcc, 0, v14, vcc
	v_add_co_u32_e32 v8, vcc, v9, v8
	v_addc_co_u32_e32 v9, vcc, 0, v10, vcc
	v_add_co_u32_e32 v4, vcc, v4, v8
	v_addc_co_u32_e32 v7, vcc, v7, v9, vcc
	v_mul_lo_u32 v8, s0, v7
	v_mul_hi_u32 v9, s0, v4
	v_mul_lo_u32 v10, s1, v4
	v_mul_lo_u32 v11, s0, v4
	v_add_u32_e32 v8, v9, v8
	v_add_u32_e32 v8, v8, v10
	v_mul_lo_u32 v12, v4, v8
	v_mul_hi_u32 v13, v4, v11
	v_mul_hi_u32 v14, v4, v8
	;; [unrolled: 1-line block ×3, first 2 shown]
	v_mul_lo_u32 v11, v7, v11
	v_mul_hi_u32 v9, v7, v8
	v_add_co_u32_e32 v12, vcc, v13, v12
	v_addc_co_u32_e32 v13, vcc, 0, v14, vcc
	v_mul_lo_u32 v8, v7, v8
	v_add_co_u32_e32 v11, vcc, v12, v11
	v_addc_co_u32_e32 v10, vcc, v13, v10, vcc
	v_addc_co_u32_e32 v9, vcc, 0, v9, vcc
	v_add_co_u32_e32 v8, vcc, v10, v8
	v_addc_co_u32_e32 v9, vcc, 0, v9, vcc
	v_add_co_u32_e32 v4, vcc, v4, v8
	v_addc_co_u32_e32 v9, vcc, v7, v9, vcc
	v_mad_u64_u32 v[7:8], s[0:1], v5, v9, 0
	v_mul_hi_u32 v10, v5, v4
	v_add_co_u32_e32 v11, vcc, v10, v7
	v_addc_co_u32_e32 v12, vcc, 0, v8, vcc
	v_mad_u64_u32 v[7:8], s[0:1], v6, v4, 0
	v_mad_u64_u32 v[9:10], s[0:1], v6, v9, 0
	v_add_co_u32_e32 v4, vcc, v11, v7
	v_addc_co_u32_e32 v4, vcc, v12, v8, vcc
	v_addc_co_u32_e32 v7, vcc, 0, v10, vcc
	v_add_co_u32_e32 v4, vcc, v4, v9
	v_addc_co_u32_e32 v9, vcc, 0, v7, vcc
	v_mul_lo_u32 v10, s21, v4
	v_mul_lo_u32 v11, s20, v9
	v_mad_u64_u32 v[7:8], s[0:1], s20, v4, 0
	v_add3_u32 v8, v8, v11, v10
	v_sub_u32_e32 v10, v6, v8
	v_mov_b32_e32 v11, s21
	v_sub_co_u32_e32 v7, vcc, v5, v7
	v_subb_co_u32_e64 v10, s[0:1], v10, v11, vcc
	v_subrev_co_u32_e64 v11, s[0:1], s20, v7
	v_subbrev_co_u32_e64 v10, s[0:1], 0, v10, s[0:1]
	v_cmp_le_u32_e64 s[0:1], s21, v10
	v_cndmask_b32_e64 v12, 0, -1, s[0:1]
	v_cmp_le_u32_e64 s[0:1], s20, v11
	v_cndmask_b32_e64 v11, 0, -1, s[0:1]
	v_cmp_eq_u32_e64 s[0:1], s21, v10
	v_cndmask_b32_e64 v10, v12, v11, s[0:1]
	v_add_co_u32_e64 v11, s[0:1], 2, v4
	v_addc_co_u32_e64 v12, s[0:1], 0, v9, s[0:1]
	v_add_co_u32_e64 v13, s[0:1], 1, v4
	v_addc_co_u32_e64 v14, s[0:1], 0, v9, s[0:1]
	v_subb_co_u32_e32 v8, vcc, v6, v8, vcc
	v_cmp_ne_u32_e64 s[0:1], 0, v10
	v_cmp_le_u32_e32 vcc, s21, v8
	v_cndmask_b32_e64 v10, v14, v12, s[0:1]
	v_cndmask_b32_e64 v12, 0, -1, vcc
	v_cmp_le_u32_e32 vcc, s20, v7
	v_cndmask_b32_e64 v7, 0, -1, vcc
	v_cmp_eq_u32_e32 vcc, s21, v8
	v_cndmask_b32_e32 v7, v12, v7, vcc
	v_cmp_ne_u32_e32 vcc, 0, v7
	v_cndmask_b32_e64 v7, v13, v11, s[0:1]
	v_cndmask_b32_e32 v8, v9, v10, vcc
	v_cndmask_b32_e32 v7, v4, v7, vcc
.LBB0_4:                                ;   in Loop: Header=BB0_2 Depth=1
	s_andn2_saveexec_b64 s[0:1], s[22:23]
	s_cbranch_execz .LBB0_6
; %bb.5:                                ;   in Loop: Header=BB0_2 Depth=1
	v_cvt_f32_u32_e32 v4, s20
	s_sub_i32 s22, 0, s20
	v_rcp_iflag_f32_e32 v4, v4
	v_mul_f32_e32 v4, 0x4f7ffffe, v4
	v_cvt_u32_f32_e32 v4, v4
	v_mul_lo_u32 v7, s22, v4
	v_mul_hi_u32 v7, v4, v7
	v_add_u32_e32 v4, v4, v7
	v_mul_hi_u32 v4, v5, v4
	v_mul_lo_u32 v7, v4, s20
	v_add_u32_e32 v8, 1, v4
	v_sub_u32_e32 v7, v5, v7
	v_subrev_u32_e32 v9, s20, v7
	v_cmp_le_u32_e32 vcc, s20, v7
	v_cndmask_b32_e32 v7, v7, v9, vcc
	v_cndmask_b32_e32 v4, v4, v8, vcc
	v_add_u32_e32 v8, 1, v4
	v_cmp_le_u32_e32 vcc, s20, v7
	v_cndmask_b32_e32 v7, v4, v8, vcc
	v_mov_b32_e32 v8, v3
.LBB0_6:                                ;   in Loop: Header=BB0_2 Depth=1
	s_or_b64 exec, exec, s[0:1]
	v_mul_lo_u32 v4, v8, s20
	v_mul_lo_u32 v11, v7, s21
	v_mad_u64_u32 v[9:10], s[0:1], v7, s20, 0
	s_load_dwordx2 s[0:1], s[6:7], 0x0
	s_add_u32 s18, s18, 1
	v_add3_u32 v4, v10, v11, v4
	v_sub_co_u32_e32 v5, vcc, v5, v9
	v_subb_co_u32_e32 v4, vcc, v6, v4, vcc
	s_waitcnt lgkmcnt(0)
	v_mul_lo_u32 v4, s0, v4
	v_mul_lo_u32 v6, s1, v5
	v_mad_u64_u32 v[1:2], s[0:1], s0, v5, v[1:2]
	s_addc_u32 s19, s19, 0
	s_add_u32 s6, s6, 8
	v_add3_u32 v2, v6, v2, v4
	v_mov_b32_e32 v4, s10
	v_mov_b32_e32 v5, s11
	s_addc_u32 s7, s7, 0
	v_cmp_ge_u64_e32 vcc, s[18:19], v[4:5]
	s_add_u32 s16, s16, 8
	s_addc_u32 s17, s17, 0
	s_cbranch_vccnz .LBB0_9
; %bb.7:                                ;   in Loop: Header=BB0_2 Depth=1
	v_mov_b32_e32 v5, v7
	v_mov_b32_e32 v6, v8
	s_branch .LBB0_2
.LBB0_8:
	v_mov_b32_e32 v8, v6
	v_mov_b32_e32 v7, v5
.LBB0_9:
	s_lshl_b64 s[0:1], s[10:11], 3
	s_add_u32 s0, s14, s0
	s_addc_u32 s1, s15, s1
	s_load_dwordx2 s[6:7], s[0:1], 0x0
	s_load_dwordx2 s[10:11], s[4:5], 0x20
                                        ; implicit-def: $vgpr63
                                        ; implicit-def: $vgpr64
                                        ; implicit-def: $vgpr83
                                        ; implicit-def: $vgpr85
                                        ; implicit-def: $vgpr87
                                        ; implicit-def: $vgpr82
                                        ; implicit-def: $vgpr84
                                        ; implicit-def: $vgpr86
                                        ; implicit-def: $vgpr81
	s_waitcnt lgkmcnt(0)
	v_mad_u64_u32 v[1:2], s[0:1], s6, v7, v[1:2]
	s_mov_b32 s0, 0x28f5c29
	v_mul_lo_u32 v3, s6, v8
	v_mul_lo_u32 v4, s7, v7
	v_mul_hi_u32 v5, v0, s0
	v_cmp_gt_u64_e32 vcc, s[10:11], v[7:8]
	v_cmp_le_u64_e64 s[0:1], s[10:11], v[7:8]
	v_add3_u32 v2, v4, v2, v3
	v_mul_u32_u24_e32 v3, 0x64, v5
	v_sub_u32_e32 v62, v0, v3
	s_and_saveexec_b64 s[4:5], s[0:1]
	s_xor_b64 s[0:1], exec, s[4:5]
; %bb.10:
	v_add_u32_e32 v63, 0x64, v62
	v_add_u32_e32 v64, 0xc8, v62
	v_add_u32_e32 v83, 0x12c, v62
	v_add_u32_e32 v85, 0x190, v62
	v_add_u32_e32 v87, 0x1f4, v62
	v_add_u32_e32 v82, 0x258, v62
	v_add_u32_e32 v84, 0x2bc, v62
	v_add_u32_e32 v86, 0x320, v62
	v_add_u32_e32 v81, 0x384, v62
; %bb.11:
	s_or_saveexec_b64 s[4:5], s[0:1]
	v_lshlrev_b64 v[36:37], 3, v[1:2]
                                        ; implicit-def: $vgpr11
                                        ; implicit-def: $vgpr13
                                        ; implicit-def: $vgpr7
                                        ; implicit-def: $vgpr15
                                        ; implicit-def: $vgpr9
                                        ; implicit-def: $vgpr19
                                        ; implicit-def: $vgpr57
                                        ; implicit-def: $vgpr17
                                        ; implicit-def: $vgpr3
                                        ; implicit-def: $vgpr1
                                        ; implicit-def: $vgpr27
                                        ; implicit-def: $vgpr33
                                        ; implicit-def: $vgpr29
                                        ; implicit-def: $vgpr39
                                        ; implicit-def: $vgpr31
                                        ; implicit-def: $vgpr25
                                        ; implicit-def: $vgpr59
                                        ; implicit-def: $vgpr23
                                        ; implicit-def: $vgpr21
                                        ; implicit-def: $vgpr5
                                        ; implicit-def: $vgpr43
                                        ; implicit-def: $vgpr49
                                        ; implicit-def: $vgpr45
                                        ; implicit-def: $vgpr51
                                        ; implicit-def: $vgpr47
                                        ; implicit-def: $vgpr55
                                        ; implicit-def: $vgpr61
                                        ; implicit-def: $vgpr53
                                        ; implicit-def: $vgpr41
                                        ; implicit-def: $vgpr35
	s_xor_b64 exec, exec, s[4:5]
	s_cbranch_execz .LBB0_13
; %bb.12:
	v_mad_u64_u32 v[0:1], s[0:1], s2, v62, 0
	v_add_u32_e32 v83, 0x12c, v62
	v_mad_u64_u32 v[4:5], s[0:1], s2, v83, 0
	v_mad_u64_u32 v[1:2], s[0:1], s3, v62, v[1:2]
	v_mov_b32_e32 v3, s13
	v_add_co_u32_e64 v2, s[0:1], s12, v36
	v_addc_co_u32_e64 v3, s[0:1], v3, v37, s[0:1]
	v_mad_u64_u32 v[5:6], s[0:1], s3, v83, v[5:6]
	v_add_u32_e32 v82, 0x258, v62
	v_mad_u64_u32 v[6:7], s[0:1], s2, v82, 0
	v_lshlrev_b64 v[0:1], 3, v[0:1]
	v_add_u32_e32 v81, 0x384, v62
	v_add_co_u32_e64 v0, s[0:1], v2, v0
	v_addc_co_u32_e64 v1, s[0:1], v3, v1, s[0:1]
	v_mad_u64_u32 v[7:8], s[0:1], s3, v82, v[7:8]
	v_mad_u64_u32 v[8:9], s[0:1], s2, v81, 0
	v_lshlrev_b64 v[4:5], 3, v[4:5]
	v_add_u32_e32 v63, 0x64, v62
	v_add_co_u32_e64 v10, s[0:1], v2, v4
	v_addc_co_u32_e64 v11, s[0:1], v3, v5, s[0:1]
	v_lshlrev_b64 v[4:5], 3, v[6:7]
	v_mov_b32_e32 v6, v9
	v_mad_u64_u32 v[6:7], s[0:1], s3, v81, v[6:7]
	v_add_u32_e32 v7, 0x4b0, v62
	v_mad_u64_u32 v[12:13], s[0:1], s2, v7, 0
	v_add_co_u32_e64 v14, s[0:1], v2, v4
	v_mov_b32_e32 v9, v6
	v_mov_b32_e32 v6, v13
	v_addc_co_u32_e64 v15, s[0:1], v3, v5, s[0:1]
	v_lshlrev_b64 v[4:5], 3, v[8:9]
	v_mad_u64_u32 v[6:7], s[0:1], s3, v7, v[6:7]
	v_add_u32_e32 v9, 0x5dc, v62
	v_mad_u64_u32 v[7:8], s[0:1], s2, v9, 0
	v_add_co_u32_e64 v16, s[0:1], v2, v4
	v_mov_b32_e32 v13, v6
	v_mov_b32_e32 v6, v8
	v_addc_co_u32_e64 v17, s[0:1], v3, v5, s[0:1]
	v_mad_u64_u32 v[8:9], s[0:1], s3, v9, v[6:7]
	v_add_u32_e32 v9, 0x708, v62
	v_lshlrev_b64 v[4:5], 3, v[12:13]
	v_mad_u64_u32 v[12:13], s[0:1], s2, v9, 0
	v_add_co_u32_e64 v18, s[0:1], v2, v4
	v_mov_b32_e32 v6, v13
	v_addc_co_u32_e64 v19, s[0:1], v3, v5, s[0:1]
	v_lshlrev_b64 v[4:5], 3, v[7:8]
	v_mad_u64_u32 v[6:7], s[0:1], s3, v9, v[6:7]
	v_add_u32_e32 v9, 0x834, v62
	v_mad_u64_u32 v[7:8], s[0:1], s2, v9, 0
	v_add_co_u32_e64 v26, s[0:1], v2, v4
	v_mov_b32_e32 v13, v6
	v_mov_b32_e32 v6, v8
	v_addc_co_u32_e64 v27, s[0:1], v3, v5, s[0:1]
	v_mad_u64_u32 v[8:9], s[0:1], s3, v9, v[6:7]
	v_add_u32_e32 v9, 0x960, v62
	v_lshlrev_b64 v[4:5], 3, v[12:13]
	v_mad_u64_u32 v[12:13], s[0:1], s2, v9, 0
	v_add_co_u32_e64 v28, s[0:1], v2, v4
	v_mov_b32_e32 v6, v13
	v_addc_co_u32_e64 v29, s[0:1], v3, v5, s[0:1]
	v_lshlrev_b64 v[4:5], 3, v[7:8]
	v_mad_u64_u32 v[6:7], s[0:1], s3, v9, v[6:7]
	v_add_u32_e32 v9, 0xa8c, v62
	v_mad_u64_u32 v[7:8], s[0:1], s2, v9, 0
	v_add_co_u32_e64 v30, s[0:1], v2, v4
	v_mov_b32_e32 v13, v6
	v_addc_co_u32_e64 v31, s[0:1], v3, v5, s[0:1]
	v_lshlrev_b64 v[4:5], 3, v[12:13]
	v_mov_b32_e32 v6, v8
	v_mad_u64_u32 v[12:13], s[0:1], s2, v63, 0
	v_mad_u64_u32 v[8:9], s[0:1], s3, v9, v[6:7]
	v_add_co_u32_e64 v32, s[0:1], v2, v4
	v_mov_b32_e32 v6, v13
	v_addc_co_u32_e64 v33, s[0:1], v3, v5, s[0:1]
	v_lshlrev_b64 v[4:5], 3, v[7:8]
	v_mad_u64_u32 v[6:7], s[0:1], s3, v63, v[6:7]
	v_add_u32_e32 v85, 0x190, v62
	v_mad_u64_u32 v[7:8], s[0:1], s2, v85, 0
	v_add_co_u32_e64 v38, s[0:1], v2, v4
	v_mov_b32_e32 v13, v6
	v_add_u32_e32 v84, 0x2bc, v62
	v_addc_co_u32_e64 v39, s[0:1], v3, v5, s[0:1]
	v_lshlrev_b64 v[4:5], 3, v[12:13]
	v_mov_b32_e32 v6, v8
	v_mad_u64_u32 v[12:13], s[0:1], s2, v84, 0
	v_mad_u64_u32 v[8:9], s[0:1], s3, v85, v[6:7]
	v_add_co_u32_e64 v56, s[0:1], v2, v4
	v_mov_b32_e32 v6, v13
	v_addc_co_u32_e64 v57, s[0:1], v3, v5, s[0:1]
	v_lshlrev_b64 v[4:5], 3, v[7:8]
	v_mad_u64_u32 v[6:7], s[0:1], s3, v84, v[6:7]
	v_add_u32_e32 v9, 0x3e8, v62
	v_mad_u64_u32 v[7:8], s[0:1], s2, v9, 0
	v_add_co_u32_e64 v65, s[0:1], v2, v4
	v_mov_b32_e32 v13, v6
	v_mov_b32_e32 v6, v8
	v_addc_co_u32_e64 v66, s[0:1], v3, v5, s[0:1]
	v_mad_u64_u32 v[8:9], s[0:1], s3, v9, v[6:7]
	v_add_u32_e32 v9, 0x514, v62
	v_lshlrev_b64 v[4:5], 3, v[12:13]
	v_mad_u64_u32 v[12:13], s[0:1], s2, v9, 0
	v_add_co_u32_e64 v67, s[0:1], v2, v4
	v_mov_b32_e32 v6, v13
	v_addc_co_u32_e64 v68, s[0:1], v3, v5, s[0:1]
	v_lshlrev_b64 v[4:5], 3, v[7:8]
	v_mad_u64_u32 v[6:7], s[0:1], s3, v9, v[6:7]
	v_add_u32_e32 v9, 0x640, v62
	v_mad_u64_u32 v[7:8], s[0:1], s2, v9, 0
	v_add_co_u32_e64 v69, s[0:1], v2, v4
	v_mov_b32_e32 v13, v6
	v_mov_b32_e32 v6, v8
	v_addc_co_u32_e64 v70, s[0:1], v3, v5, s[0:1]
	v_mad_u64_u32 v[8:9], s[0:1], s3, v9, v[6:7]
	v_add_u32_e32 v9, 0x76c, v62
	v_lshlrev_b64 v[4:5], 3, v[12:13]
	;; [unrolled: 15-line block ×3, first 2 shown]
	v_mad_u64_u32 v[12:13], s[0:1], s2, v9, 0
	v_add_co_u32_e64 v75, s[0:1], v2, v4
	v_mov_b32_e32 v6, v13
	v_addc_co_u32_e64 v76, s[0:1], v3, v5, s[0:1]
	v_lshlrev_b64 v[4:5], 3, v[7:8]
	v_mad_u64_u32 v[6:7], s[0:1], s3, v9, v[6:7]
	v_add_u32_e32 v9, 0xaf0, v62
	v_mad_u64_u32 v[7:8], s[0:1], s2, v9, 0
	v_add_co_u32_e64 v77, s[0:1], v2, v4
	v_mov_b32_e32 v13, v6
	v_add_u32_e32 v64, 0xc8, v62
	v_addc_co_u32_e64 v78, s[0:1], v3, v5, s[0:1]
	v_lshlrev_b64 v[4:5], 3, v[12:13]
	v_mov_b32_e32 v6, v8
	v_mad_u64_u32 v[12:13], s[0:1], s2, v64, 0
	v_mad_u64_u32 v[8:9], s[0:1], s3, v9, v[6:7]
	v_add_co_u32_e64 v79, s[0:1], v2, v4
	v_mov_b32_e32 v6, v13
	v_addc_co_u32_e64 v80, s[0:1], v3, v5, s[0:1]
	v_lshlrev_b64 v[4:5], 3, v[7:8]
	v_mad_u64_u32 v[6:7], s[0:1], s3, v64, v[6:7]
	v_add_u32_e32 v87, 0x1f4, v62
	v_mad_u64_u32 v[7:8], s[0:1], s2, v87, 0
	v_add_co_u32_e64 v88, s[0:1], v2, v4
	v_mov_b32_e32 v13, v6
	v_add_u32_e32 v86, 0x320, v62
	v_addc_co_u32_e64 v89, s[0:1], v3, v5, s[0:1]
	v_lshlrev_b64 v[4:5], 3, v[12:13]
	v_mov_b32_e32 v6, v8
	v_mad_u64_u32 v[12:13], s[0:1], s2, v86, 0
	v_mad_u64_u32 v[8:9], s[0:1], s3, v87, v[6:7]
	v_add_co_u32_e64 v90, s[0:1], v2, v4
	v_mov_b32_e32 v6, v13
	v_addc_co_u32_e64 v91, s[0:1], v3, v5, s[0:1]
	v_lshlrev_b64 v[4:5], 3, v[7:8]
	v_mad_u64_u32 v[6:7], s[0:1], s3, v86, v[6:7]
	v_add_u32_e32 v9, 0x44c, v62
	v_mad_u64_u32 v[7:8], s[0:1], s2, v9, 0
	v_add_co_u32_e64 v92, s[0:1], v2, v4
	v_mov_b32_e32 v13, v6
	v_mov_b32_e32 v6, v8
	v_addc_co_u32_e64 v93, s[0:1], v3, v5, s[0:1]
	v_mad_u64_u32 v[8:9], s[0:1], s3, v9, v[6:7]
	v_add_u32_e32 v9, 0x578, v62
	v_lshlrev_b64 v[4:5], 3, v[12:13]
	v_mad_u64_u32 v[12:13], s[0:1], s2, v9, 0
	v_add_co_u32_e64 v94, s[0:1], v2, v4
	v_mov_b32_e32 v6, v13
	v_addc_co_u32_e64 v95, s[0:1], v3, v5, s[0:1]
	v_lshlrev_b64 v[4:5], 3, v[7:8]
	v_mad_u64_u32 v[6:7], s[0:1], s3, v9, v[6:7]
	v_add_u32_e32 v9, 0x6a4, v62
	v_mad_u64_u32 v[7:8], s[0:1], s2, v9, 0
	v_add_co_u32_e64 v96, s[0:1], v2, v4
	v_mov_b32_e32 v13, v6
	v_mov_b32_e32 v6, v8
	v_addc_co_u32_e64 v97, s[0:1], v3, v5, s[0:1]
	v_mad_u64_u32 v[8:9], s[0:1], s3, v9, v[6:7]
	v_add_u32_e32 v9, 0x7d0, v62
	v_lshlrev_b64 v[4:5], 3, v[12:13]
	;; [unrolled: 15-line block ×3, first 2 shown]
	v_mad_u64_u32 v[12:13], s[0:1], s2, v9, 0
	v_add_co_u32_e64 v102, s[0:1], v2, v4
	v_mov_b32_e32 v6, v13
	v_addc_co_u32_e64 v103, s[0:1], v3, v5, s[0:1]
	v_lshlrev_b64 v[4:5], 3, v[7:8]
	v_mad_u64_u32 v[6:7], s[0:1], s3, v9, v[6:7]
	v_add_u32_e32 v9, 0xb54, v62
	v_mad_u64_u32 v[7:8], s[0:1], s2, v9, 0
	v_add_co_u32_e64 v104, s[0:1], v2, v4
	v_mov_b32_e32 v13, v6
	v_mov_b32_e32 v6, v8
	v_addc_co_u32_e64 v105, s[0:1], v3, v5, s[0:1]
	v_mad_u64_u32 v[8:9], s[0:1], s3, v9, v[6:7]
	v_lshlrev_b64 v[4:5], 3, v[12:13]
	v_add_co_u32_e64 v106, s[0:1], v2, v4
	v_addc_co_u32_e64 v107, s[0:1], v3, v5, s[0:1]
	v_lshlrev_b64 v[4:5], 3, v[7:8]
	v_add_co_u32_e64 v108, s[0:1], v2, v4
	v_addc_co_u32_e64 v109, s[0:1], v3, v5, s[0:1]
	global_load_dwordx2 v[34:35], v[0:1], off
	global_load_dwordx2 v[40:41], v[10:11], off
	;; [unrolled: 1-line block ×15, first 2 shown]
                                        ; kill: killed $vgpr30 killed $vgpr31
                                        ; kill: killed $vgpr0 killed $vgpr1
                                        ; kill: killed $vgpr38 killed $vgpr39
                                        ; kill: killed $vgpr18 killed $vgpr19
                                        ; kill: killed $vgpr10 killed $vgpr11
                                        ; kill: killed $vgpr69 killed $vgpr70
                                        ; kill: killed $vgpr56 killed $vgpr57
                                        ; kill: killed $vgpr28 killed $vgpr29
                                        ; kill: killed $vgpr14 killed $vgpr15
                                        ; kill: killed $vgpr65 killed $vgpr66
                                        ; kill: killed $vgpr32 killed $vgpr33
                                        ; kill: killed $vgpr16 killed $vgpr17
                                        ; kill: killed $vgpr67 killed $vgpr68
                                        ; kill: killed $vgpr26 killed $vgpr27
                                        ; kill: killed $vgpr71 killed $vgpr72
	global_load_dwordx2 v[30:31], v[73:74], off
	global_load_dwordx2 v[38:39], v[75:76], off
	;; [unrolled: 1-line block ×15, first 2 shown]
.LBB0_13:
	s_or_b64 exec, exec, s[4:5]
	s_waitcnt vmcnt(25)
	v_sub_f32_e32 v65, v52, v54
	s_waitcnt vmcnt(21)
	v_sub_f32_e32 v66, v48, v50
	v_add_f32_e32 v68, v66, v65
	v_add_f32_e32 v65, v50, v54
	v_fma_f32 v67, -0.5, v65, v34
	v_add_f32_e32 v65, v48, v52
	v_add_f32_e32 v77, v52, v34
	v_fmac_f32_e32 v34, -0.5, v65
	v_sub_f32_e32 v69, v55, v51
	v_mov_b32_e32 v70, v34
	v_sub_f32_e32 v65, v54, v52
	v_sub_f32_e32 v66, v50, v48
	v_fmac_f32_e32 v70, 0x3f737871, v69
	v_sub_f32_e32 v71, v53, v49
	v_fmac_f32_e32 v34, 0xbf737871, v69
	v_add_f32_e32 v65, v66, v65
	v_fmac_f32_e32 v70, 0xbf167918, v71
	v_fmac_f32_e32 v34, 0x3f167918, v71
	;; [unrolled: 1-line block ×4, first 2 shown]
	v_sub_f32_e32 v65, v60, v46
	s_waitcnt vmcnt(20)
	v_sub_f32_e32 v66, v42, v44
	v_add_f32_e32 v72, v66, v65
	v_add_f32_e32 v65, v44, v46
	v_fma_f32 v88, -0.5, v65, v40
	v_add_f32_e32 v65, v42, v60
	v_add_f32_e32 v78, v60, v40
	v_fmac_f32_e32 v40, -0.5, v65
	v_sub_f32_e32 v65, v46, v60
	v_sub_f32_e32 v66, v44, v42
	v_add_f32_e32 v66, v66, v65
	v_sub_f32_e32 v73, v47, v45
	v_mov_b32_e32 v65, v40
	v_fmac_f32_e32 v65, 0x3f737871, v73
	v_sub_f32_e32 v74, v61, v43
	v_fmac_f32_e32 v40, 0xbf737871, v73
	v_fmac_f32_e32 v65, 0xbf167918, v74
	;; [unrolled: 1-line block ×5, first 2 shown]
	v_sub_f32_e32 v66, v61, v47
	v_sub_f32_e32 v75, v43, v45
	v_add_f32_e32 v75, v75, v66
	v_add_f32_e32 v66, v45, v47
	;; [unrolled: 1-line block ×3, first 2 shown]
	v_sub_f32_e32 v90, v46, v44
	v_add_f32_e32 v46, v46, v78
	v_fma_f32 v89, -0.5, v66, v41
	v_add_f32_e32 v66, v61, v41
	v_fmac_f32_e32 v41, -0.5, v76
	v_sub_f32_e32 v76, v60, v42
	v_sub_f32_e32 v60, v47, v61
	;; [unrolled: 1-line block ×3, first 2 shown]
	v_add_f32_e32 v44, v44, v46
	v_add_f32_e32 v61, v61, v60
	v_mov_b32_e32 v60, v41
	v_add_f32_e32 v46, v42, v44
	v_mov_b32_e32 v44, v89
	v_fmac_f32_e32 v60, 0xbf737871, v90
	v_fmac_f32_e32 v41, 0x3f737871, v90
	v_mov_b32_e32 v42, v88
	v_fmac_f32_e32 v44, 0x3f737871, v76
	v_fmac_f32_e32 v60, 0x3f167918, v76
	;; [unrolled: 1-line block ×3, first 2 shown]
	v_mov_b32_e32 v91, v67
	v_fmac_f32_e32 v42, 0xbf737871, v74
	v_fmac_f32_e32 v44, 0x3f167918, v90
	;; [unrolled: 1-line block ×4, first 2 shown]
	v_add_f32_e32 v61, v54, v77
	v_fmac_f32_e32 v91, 0xbf737871, v71
	v_fmac_f32_e32 v42, 0xbf167918, v73
	v_fmac_f32_e32 v44, 0x3e9e377a, v75
	v_add_f32_e32 v61, v50, v61
	v_fmac_f32_e32 v91, 0xbf167918, v69
	v_fmac_f32_e32 v42, 0x3e9e377a, v72
	v_mul_f32_e32 v92, 0xbf167918, v44
	v_mul_f32_e32 v93, 0xbf737871, v60
	;; [unrolled: 1-line block ×3, first 2 shown]
	v_fmac_f32_e32 v89, 0xbf737871, v76
	v_add_f32_e32 v61, v48, v61
	v_fmac_f32_e32 v91, 0x3e9e377a, v68
	v_fmac_f32_e32 v92, 0x3f4f1bbd, v42
	v_fmac_f32_e32 v93, 0x3e9e377a, v65
	v_fmac_f32_e32 v94, 0xbe9e377a, v40
	v_mul_u32_u24_e32 v95, 10, v62
	v_fmac_f32_e32 v88, 0x3f737871, v74
	v_fmac_f32_e32 v89, 0xbf167918, v90
	v_add_f32_e32 v77, v46, v61
	v_add_f32_e32 v78, v91, v92
	;; [unrolled: 1-line block ×4, first 2 shown]
	v_lshl_add_u32 v95, v95, 2, 0
	v_fmac_f32_e32 v67, 0x3f737871, v71
	v_fmac_f32_e32 v88, 0x3f167918, v73
	;; [unrolled: 1-line block ×3, first 2 shown]
	ds_write2_b64 v95, v[77:78], v[79:80] offset1:1
	v_sub_f32_e32 v78, v70, v93
	v_fmac_f32_e32 v67, 0x3f167918, v69
	v_fmac_f32_e32 v88, 0x3e9e377a, v72
	v_mul_f32_e32 v70, 0xbf167918, v89
	v_fmac_f32_e32 v67, 0x3e9e377a, v68
	v_fmac_f32_e32 v70, 0xbf4f1bbd, v88
	v_sub_f32_e32 v77, v91, v92
	v_sub_f32_e32 v69, v61, v46
	v_add_f32_e32 v68, v67, v70
	ds_write2_b64 v95, v[68:69], v[77:78] offset0:2 offset1:3
	v_sub_f32_e32 v68, v67, v70
	v_sub_f32_e32 v67, v34, v94
	s_waitcnt vmcnt(15)
	v_sub_f32_e32 v34, v22, v24
	s_waitcnt vmcnt(11)
	v_sub_f32_e32 v46, v32, v38
	ds_write_b64 v95, v[67:68] offset:32
	v_add_f32_e32 v34, v46, v34
	v_add_f32_e32 v46, v38, v24
	;; [unrolled: 1-line block ×3, first 2 shown]
	v_fma_f32 v46, -0.5, v46, v4
	v_add_f32_e32 v61, v22, v4
	v_fmac_f32_e32 v4, -0.5, v67
	v_sub_f32_e32 v70, v25, v39
	v_mov_b32_e32 v71, v4
	v_sub_f32_e32 v67, v24, v22
	v_sub_f32_e32 v68, v38, v32
	v_fmac_f32_e32 v71, 0x3f737871, v70
	v_sub_f32_e32 v72, v23, v33
	v_fmac_f32_e32 v4, 0xbf737871, v70
	v_add_f32_e32 v67, v68, v67
	v_fmac_f32_e32 v71, 0xbf167918, v72
	v_fmac_f32_e32 v4, 0x3f167918, v72
	v_fmac_f32_e32 v71, 0x3e9e377a, v67
	v_fmac_f32_e32 v4, 0x3e9e377a, v67
	v_sub_f32_e32 v67, v58, v30
	s_waitcnt vmcnt(10)
	v_sub_f32_e32 v68, v26, v28
	v_add_f32_e32 v73, v68, v67
	v_add_f32_e32 v67, v28, v30
	;; [unrolled: 1-line block ×3, first 2 shown]
	v_fma_f32 v94, -0.5, v67, v20
	v_add_f32_e32 v67, v58, v20
	v_fmac_f32_e32 v20, -0.5, v68
	v_sub_f32_e32 v74, v31, v29
	v_mov_b32_e32 v96, v20
	v_sub_f32_e32 v68, v30, v58
	v_sub_f32_e32 v69, v28, v26
	v_fmac_f32_e32 v96, 0x3f737871, v74
	v_sub_f32_e32 v75, v59, v27
	v_fmac_f32_e32 v20, 0xbf737871, v74
	v_add_f32_e32 v68, v69, v68
	v_fmac_f32_e32 v96, 0xbf167918, v75
	v_fmac_f32_e32 v20, 0x3f167918, v75
	;; [unrolled: 1-line block ×4, first 2 shown]
	v_sub_f32_e32 v68, v59, v31
	v_sub_f32_e32 v69, v27, v29
	v_add_f32_e32 v76, v69, v68
	v_add_f32_e32 v68, v29, v31
	v_fma_f32 v97, -0.5, v68, v21
	v_add_f32_e32 v68, v27, v59
	v_add_f32_e32 v98, v59, v21
	v_fmac_f32_e32 v21, -0.5, v68
	v_sub_f32_e32 v77, v58, v26
	v_sub_f32_e32 v78, v30, v28
	v_mov_b32_e32 v99, v21
	v_mov_b32_e32 v101, v97
	v_sub_f32_e32 v58, v31, v59
	v_sub_f32_e32 v59, v29, v27
	v_fmac_f32_e32 v99, 0xbf737871, v78
	v_fmac_f32_e32 v21, 0x3f737871, v78
	v_mov_b32_e32 v100, v94
	v_fmac_f32_e32 v101, 0x3f737871, v77
	v_add_f32_e32 v58, v59, v58
	v_fmac_f32_e32 v99, 0x3f167918, v77
	v_fmac_f32_e32 v21, 0xbf167918, v77
	v_mov_b32_e32 v79, v46
	v_add_f32_e32 v30, v30, v67
	v_fmac_f32_e32 v100, 0xbf737871, v75
	v_fmac_f32_e32 v101, 0x3f167918, v78
	;; [unrolled: 1-line block ×4, first 2 shown]
	v_add_f32_e32 v58, v24, v61
	v_fmac_f32_e32 v79, 0xbf737871, v72
	v_add_f32_e32 v28, v28, v30
	v_fmac_f32_e32 v100, 0xbf167918, v74
	v_fmac_f32_e32 v101, 0x3e9e377a, v76
	v_add_f32_e32 v58, v38, v58
	v_fmac_f32_e32 v79, 0xbf167918, v70
	v_add_f32_e32 v26, v26, v28
	v_fmac_f32_e32 v100, 0x3e9e377a, v73
	v_mul_f32_e32 v28, 0xbf167918, v101
	v_mul_f32_e32 v30, 0xbf737871, v99
	;; [unrolled: 1-line block ×3, first 2 shown]
	v_fmac_f32_e32 v97, 0xbf737871, v77
	v_add_f32_e32 v61, v32, v58
	v_fmac_f32_e32 v79, 0x3e9e377a, v34
	v_fmac_f32_e32 v28, 0x3f4f1bbd, v100
	;; [unrolled: 1-line block ×4, first 2 shown]
	v_mul_i32_i24_e32 v67, 10, v63
	v_fmac_f32_e32 v94, 0x3f737871, v75
	v_fmac_f32_e32 v97, 0xbf167918, v78
	v_add_f32_e32 v58, v26, v61
	v_add_f32_e32 v59, v79, v28
	;; [unrolled: 1-line block ×4, first 2 shown]
	v_lshl_add_u32 v67, v67, 2, 0
	v_fmac_f32_e32 v46, 0x3f737871, v72
	v_fmac_f32_e32 v94, 0x3f167918, v74
	;; [unrolled: 1-line block ×3, first 2 shown]
	ds_write2_b64 v67, v[58:59], v[68:69] offset1:1
	v_sub_f32_e32 v58, v79, v28
	v_fmac_f32_e32 v46, 0x3f167918, v70
	v_fmac_f32_e32 v94, 0x3e9e377a, v73
	v_mul_f32_e32 v28, 0xbf167918, v97
	v_fmac_f32_e32 v46, 0x3e9e377a, v34
	v_fmac_f32_e32 v28, 0xbf4f1bbd, v94
	v_sub_f32_e32 v59, v71, v30
	v_sub_f32_e32 v69, v61, v26
	v_add_f32_e32 v68, v46, v28
	ds_write2_b64 v67, v[68:69], v[58:59] offset0:2 offset1:3
	v_sub_f32_e32 v58, v4, v80
	s_waitcnt vmcnt(5)
	v_sub_f32_e32 v4, v16, v18
	s_waitcnt vmcnt(1)
	v_sub_f32_e32 v26, v12, v14
	v_add_f32_e32 v4, v26, v4
	v_add_f32_e32 v26, v14, v18
	;; [unrolled: 1-line block ×3, first 2 shown]
	v_sub_f32_e32 v59, v46, v28
	v_fma_f32 v26, -0.5, v26, v0
	v_add_f32_e32 v28, v16, v0
	v_fmac_f32_e32 v0, -0.5, v30
	v_sub_f32_e32 v30, v18, v16
	v_sub_f32_e32 v34, v14, v12
	v_add_f32_e32 v30, v34, v30
	v_sub_f32_e32 v34, v19, v15
	v_mov_b32_e32 v46, v0
	v_fmac_f32_e32 v46, 0x3f737871, v34
	v_sub_f32_e32 v61, v17, v13
	v_fmac_f32_e32 v0, 0xbf737871, v34
	v_fmac_f32_e32 v46, 0xbf167918, v61
	;; [unrolled: 1-line block ×3, first 2 shown]
	ds_write_b64 v67, v[58:59] offset:32
	v_fmac_f32_e32 v46, 0x3e9e377a, v30
	v_fmac_f32_e32 v0, 0x3e9e377a, v30
	v_sub_f32_e32 v30, v56, v8
	s_waitcnt vmcnt(0)
	v_sub_f32_e32 v58, v10, v6
	v_add_f32_e32 v30, v58, v30
	v_add_f32_e32 v58, v6, v8
	;; [unrolled: 1-line block ×3, first 2 shown]
	v_fma_f32 v102, -0.5, v58, v2
	v_add_f32_e32 v58, v56, v2
	v_fmac_f32_e32 v2, -0.5, v59
	v_sub_f32_e32 v59, v8, v56
	v_sub_f32_e32 v68, v6, v10
	v_add_f32_e32 v59, v68, v59
	v_sub_f32_e32 v68, v9, v7
	v_mov_b32_e32 v103, v2
	v_fmac_f32_e32 v103, 0x3f737871, v68
	v_sub_f32_e32 v69, v57, v11
	v_fmac_f32_e32 v2, 0xbf737871, v68
	v_fmac_f32_e32 v103, 0xbf167918, v69
	;; [unrolled: 1-line block ×5, first 2 shown]
	v_sub_f32_e32 v59, v57, v9
	v_sub_f32_e32 v70, v11, v7
	v_add_f32_e32 v70, v70, v59
	v_add_f32_e32 v59, v7, v9
	v_fma_f32 v104, -0.5, v59, v3
	v_add_f32_e32 v59, v11, v57
	v_add_f32_e32 v105, v57, v3
	v_fmac_f32_e32 v3, -0.5, v59
	v_sub_f32_e32 v72, v56, v10
	v_sub_f32_e32 v73, v8, v6
	v_mov_b32_e32 v106, v3
	v_mov_b32_e32 v108, v104
	v_sub_f32_e32 v56, v9, v57
	v_sub_f32_e32 v57, v7, v11
	v_fmac_f32_e32 v106, 0xbf737871, v73
	v_fmac_f32_e32 v3, 0x3f737871, v73
	v_mov_b32_e32 v107, v102
	v_fmac_f32_e32 v108, 0x3f737871, v72
	v_add_f32_e32 v56, v57, v56
	v_fmac_f32_e32 v106, 0x3f167918, v72
	v_fmac_f32_e32 v3, 0xbf167918, v72
	v_mov_b32_e32 v74, v26
	v_add_f32_e32 v8, v8, v58
	v_fmac_f32_e32 v107, 0xbf737871, v69
	v_fmac_f32_e32 v108, 0x3f167918, v73
	;; [unrolled: 1-line block ×4, first 2 shown]
	v_add_f32_e32 v28, v18, v28
	v_fmac_f32_e32 v74, 0xbf737871, v61
	v_add_f32_e32 v6, v6, v8
	v_fmac_f32_e32 v107, 0xbf167918, v68
	v_fmac_f32_e32 v108, 0x3e9e377a, v70
	;; [unrolled: 1-line block ×3, first 2 shown]
	v_add_f32_e32 v28, v14, v28
	v_fmac_f32_e32 v74, 0xbf167918, v34
	v_add_f32_e32 v6, v10, v6
	v_fmac_f32_e32 v107, 0x3e9e377a, v30
	v_mul_f32_e32 v8, 0xbf167918, v108
	v_mul_f32_e32 v10, 0xbf737871, v106
	;; [unrolled: 1-line block ×3, first 2 shown]
	v_fmac_f32_e32 v26, 0x3f737871, v61
	v_fmac_f32_e32 v102, 0x3f737871, v69
	;; [unrolled: 1-line block ×3, first 2 shown]
	v_add_f32_e32 v28, v12, v28
	v_fmac_f32_e32 v74, 0x3e9e377a, v4
	v_fmac_f32_e32 v8, 0x3f4f1bbd, v107
	;; [unrolled: 1-line block ×4, first 2 shown]
	v_mul_i32_i24_e32 v71, 10, v64
	v_fmac_f32_e32 v26, 0x3f167918, v34
	v_fmac_f32_e32 v102, 0x3f167918, v68
	;; [unrolled: 1-line block ×3, first 2 shown]
	v_add_f32_e32 v56, v6, v28
	v_add_f32_e32 v57, v74, v8
	;; [unrolled: 1-line block ×4, first 2 shown]
	v_lshl_add_u32 v71, v71, 2, 0
	v_fmac_f32_e32 v26, 0x3e9e377a, v4
	v_fmac_f32_e32 v102, 0x3e9e377a, v30
	v_mul_f32_e32 v4, 0xbf167918, v104
	ds_write2_b64 v71, v[56:57], v[58:59] offset1:1
	v_sub_f32_e32 v56, v74, v8
	v_fmac_f32_e32 v4, 0xbf4f1bbd, v102
	v_sub_f32_e32 v59, v28, v6
	v_add_f32_e32 v6, v53, v35
	v_add_f32_e32 v8, v51, v55
	;; [unrolled: 1-line block ×3, first 2 shown]
	v_sub_f32_e32 v57, v46, v10
	v_add_f32_e32 v58, v26, v4
	v_add_f32_e32 v6, v55, v6
	v_fma_f32 v114, -0.5, v8, v35
	v_fmac_f32_e32 v35, -0.5, v30
	ds_write2_b64 v71, v[58:59], v[56:57] offset0:2 offset1:3
	v_sub_f32_e32 v59, v54, v50
	v_sub_f32_e32 v109, v52, v48
	v_add_f32_e32 v6, v51, v6
	v_mov_b32_e32 v115, v35
	v_mov_b32_e32 v124, v114
	v_sub_f32_e32 v10, v53, v55
	v_sub_f32_e32 v28, v55, v53
	;; [unrolled: 1-line block ×4, first 2 shown]
	v_add_f32_e32 v110, v49, v6
	v_add_f32_e32 v6, v47, v66
	v_mul_f32_e32 v112, 0xbe9e377a, v41
	v_fmac_f32_e32 v115, 0xbf737871, v59
	v_fmac_f32_e32 v35, 0x3f737871, v59
	;; [unrolled: 1-line block ×3, first 2 shown]
	v_add_f32_e32 v6, v45, v6
	v_fmac_f32_e32 v112, 0x3f737871, v40
	v_sub_f32_e32 v40, v0, v75
	v_add_f32_e32 v113, v34, v10
	v_add_f32_e32 v0, v46, v28
	v_fmac_f32_e32 v115, 0x3f167918, v109
	v_fmac_f32_e32 v35, 0xbf167918, v109
	v_mul_f32_e32 v122, 0x3f167918, v42
	v_mul_f32_e32 v123, 0x3f737871, v65
	v_fmac_f32_e32 v124, 0x3f167918, v59
	v_fmac_f32_e32 v114, 0xbf737871, v109
	v_add_f32_e32 v111, v43, v6
	v_fmac_f32_e32 v115, 0x3e9e377a, v0
	v_fmac_f32_e32 v35, 0x3e9e377a, v0
	;; [unrolled: 1-line block ×5, first 2 shown]
	s_movk_i32 s0, 0xffdc
	v_fmac_f32_e32 v114, 0xbf167918, v59
	v_mul_f32_e32 v59, 0xbf4f1bbd, v89
	v_sub_f32_e32 v41, v26, v4
	v_add_f32_e32 v90, v111, v110
	v_add_f32_e32 v91, v124, v122
	;; [unrolled: 1-line block ×4, first 2 shown]
	v_mad_i32_i24 v60, v62, s0, v95
	v_mad_i32_i24 v80, v64, s0, v71
	v_lshl_add_u32 v54, v85, 2, 0
	v_lshl_add_u32 v57, v84, 2, 0
	v_fmac_f32_e32 v114, 0x3e9e377a, v113
	v_fmac_f32_e32 v59, 0x3f167918, v88
	ds_write_b64 v71, v[40:41] offset:32
	s_waitcnt lgkmcnt(0)
	s_barrier
	v_add_u32_e32 v72, 0xe00, v60
	v_add_u32_e32 v73, 0x1e00, v60
	v_mad_i32_i24 v79, v63, s0, v67
	v_add_u32_e32 v68, 0x1200, v60
	v_add_u32_e32 v74, 0x2000, v60
	v_lshl_add_u32 v61, v83, 2, 0
	v_add_u32_e32 v75, 0x1400, v60
	v_add_u32_e32 v69, 0x2400, v60
	v_lshl_add_u32 v56, v87, 2, 0
	ds_read_b32 v26, v54
	ds_read_b32 v10, v56
	v_lshl_add_u32 v65, v82, 2, 0
	ds_read_b32 v34, v60
	ds_read_b32 v28, v61
	;; [unrolled: 1-line block ×3, first 2 shown]
	v_add_u32_e32 v76, 0x1800, v60
	v_add_u32_e32 v77, 0x2800, v60
	v_lshl_add_u32 v58, v86, 2, 0
	ds_read_b32 v6, v57
	ds_read_b32 v4, v58
	v_add_u32_e32 v70, 0x1c00, v60
	v_add_u32_e32 v78, 0x2a00, v60
	v_lshl_add_u32 v66, v81, 2, 0
	ds_read_b32 v30, v80
	ds_read_b32 v55, v79
	;; [unrolled: 1-line block ×3, first 2 shown]
	ds_read2_b32 v[116:117], v72 offset0:104 offset1:204
	ds_read2_b32 v[118:119], v73 offset0:80 offset1:180
	;; [unrolled: 1-line block ×10, first 2 shown]
	s_waitcnt lgkmcnt(0)
	s_barrier
	ds_write2_b64 v95, v[90:91], v[92:93] offset1:1
	v_sub_f32_e32 v90, v124, v122
	v_sub_f32_e32 v91, v115, v123
	;; [unrolled: 1-line block ×3, first 2 shown]
	v_add_f32_e32 v88, v114, v59
	ds_write2_b64 v95, v[88:89], v[90:91] offset0:2 offset1:3
	v_sub_f32_e32 v88, v35, v112
	v_add_f32_e32 v35, v23, v5
	v_add_f32_e32 v35, v25, v35
	v_sub_f32_e32 v89, v114, v59
	v_add_f32_e32 v59, v39, v25
	v_sub_f32_e32 v24, v24, v38
	v_sub_f32_e32 v38, v23, v25
	;; [unrolled: 1-line block ×4, first 2 shown]
	v_add_f32_e32 v22, v33, v23
	v_add_f32_e32 v23, v39, v35
	v_sub_f32_e32 v35, v33, v39
	v_sub_f32_e32 v39, v39, v33
	v_add_f32_e32 v33, v33, v23
	v_add_f32_e32 v23, v31, v98
	;; [unrolled: 1-line block ×3, first 2 shown]
	v_mul_f32_e32 v29, 0xbe9e377a, v21
	v_add_f32_e32 v31, v35, v38
	v_fma_f32 v35, -0.5, v59, v5
	v_fmac_f32_e32 v5, -0.5, v22
	v_fmac_f32_e32 v29, 0x3f737871, v20
	v_add_f32_e32 v20, v39, v25
	v_mov_b32_e32 v25, v5
	v_mov_b32_e32 v59, v35
	v_fmac_f32_e32 v25, 0xbf737871, v24
	v_fmac_f32_e32 v5, 0x3f737871, v24
	;; [unrolled: 1-line block ×5, first 2 shown]
	v_mul_f32_e32 v38, 0x3f167918, v100
	v_mul_f32_e32 v39, 0x3f737871, v96
	v_fmac_f32_e32 v59, 0x3f167918, v24
	v_fmac_f32_e32 v35, 0xbf737871, v32
	v_add_f32_e32 v27, v27, v23
	v_fmac_f32_e32 v25, 0x3e9e377a, v20
	v_fmac_f32_e32 v5, 0x3e9e377a, v20
	;; [unrolled: 1-line block ×6, first 2 shown]
	v_mul_f32_e32 v24, 0xbf4f1bbd, v97
	v_add_f32_e32 v20, v27, v33
	v_add_f32_e32 v21, v59, v38
	;; [unrolled: 1-line block ×4, first 2 shown]
	v_fmac_f32_e32 v35, 0x3e9e377a, v31
	v_fmac_f32_e32 v24, 0x3f167918, v94
	ds_write_b64 v95, v[88:89] offset:32
	ds_write2_b64 v67, v[20:21], v[22:23] offset1:1
	v_sub_f32_e32 v20, v59, v38
	v_sub_f32_e32 v21, v25, v39
	;; [unrolled: 1-line block ×3, first 2 shown]
	v_add_f32_e32 v22, v35, v24
	ds_write2_b64 v67, v[22:23], v[20:21] offset0:2 offset1:3
	v_sub_f32_e32 v20, v5, v29
	v_add_f32_e32 v5, v17, v1
	v_add_f32_e32 v22, v15, v19
	;; [unrolled: 1-line block ×4, first 2 shown]
	v_sub_f32_e32 v14, v18, v14
	v_sub_f32_e32 v18, v17, v19
	;; [unrolled: 1-line block ×4, first 2 shown]
	v_add_f32_e32 v16, v13, v17
	v_sub_f32_e32 v17, v13, v15
	v_add_f32_e32 v7, v7, v9
	v_mul_f32_e32 v3, 0xbe9e377a, v3
	v_fma_f32 v9, -0.5, v22, v1
	v_add_f32_e32 v5, v15, v5
	v_fmac_f32_e32 v3, 0x3f737871, v2
	v_add_f32_e32 v2, v17, v18
	v_mov_b32_e32 v17, v9
	v_fmac_f32_e32 v1, -0.5, v16
	v_sub_f32_e32 v15, v15, v13
	v_add_f32_e32 v5, v13, v5
	v_fmac_f32_e32 v17, 0x3f737871, v12
	v_fmac_f32_e32 v9, 0xbf737871, v12
	v_mov_b32_e32 v13, v1
	v_fmac_f32_e32 v17, 0x3f167918, v14
	v_fmac_f32_e32 v9, 0xbf167918, v14
	;; [unrolled: 1-line block ×6, first 2 shown]
	v_add_f32_e32 v2, v15, v19
	v_fmac_f32_e32 v13, 0x3f167918, v12
	v_fmac_f32_e32 v1, 0xbf167918, v12
	v_mul_f32_e32 v14, 0x3f737871, v103
	v_fmac_f32_e32 v13, 0x3e9e377a, v2
	v_fmac_f32_e32 v1, 0x3e9e377a, v2
	v_mul_f32_e32 v12, 0x3f167918, v107
	v_fmac_f32_e32 v14, 0x3e9e377a, v106
	v_mul_f32_e32 v19, 0xbf4f1bbd, v104
	v_sub_f32_e32 v21, v35, v24
	v_add_f32_e32 v7, v11, v7
	v_fmac_f32_e32 v12, 0x3f4f1bbd, v108
	v_fmac_f32_e32 v19, 0x3f167918, v102
	v_add_f32_e32 v2, v1, v3
	v_sub_f32_e32 v11, v1, v3
	v_add_f32_e32 v1, v13, v14
	s_movk_i32 s0, 0xcd
	v_sub_f32_e32 v14, v13, v14
	v_sub_f32_e32 v13, v17, v12
	v_add_f32_e32 v16, v17, v12
	v_add_f32_e32 v15, v7, v5
	v_sub_f32_e32 v18, v5, v7
	v_add_f32_e32 v17, v9, v19
	v_sub_f32_e32 v12, v9, v19
	ds_write_b64 v67, v[20:21] offset:32
	ds_write2_b64 v71, v[15:16], v[1:2] offset1:1
	ds_write2_b64 v71, v[17:18], v[13:14] offset0:2 offset1:3
	ds_write_b64 v71, v[11:12] offset:32
	v_mul_lo_u16_sdwa v1, v62, s0 dst_sel:DWORD dst_unused:UNUSED_PAD src0_sel:BYTE_0 src1_sel:DWORD
	v_lshrrev_b16_e32 v7, 11, v1
	v_mul_lo_u16_e32 v1, 10, v7
	v_sub_u16_e32 v9, v62, v1
	v_mov_b32_e32 v1, 4
	v_lshlrev_b32_sdwa v2, v1, v9 dst_sel:DWORD dst_unused:UNUSED_PAD src0_sel:DWORD src1_sel:BYTE_0
	s_waitcnt lgkmcnt(0)
	s_barrier
	global_load_dwordx4 v[11:14], v2, s[8:9]
	v_mul_lo_u16_sdwa v2, v63, s0 dst_sel:DWORD dst_unused:UNUSED_PAD src0_sel:BYTE_0 src1_sel:DWORD
	s_mov_b32 s0, 0xcccd
	v_mul_u32_u24_sdwa v3, v86, s0 dst_sel:DWORD dst_unused:UNUSED_PAD src0_sel:WORD_0 src1_sel:DWORD
	v_lshrrev_b16_e32 v22, 11, v2
	v_lshrrev_b32_e32 v130, 19, v3
	v_mul_lo_u16_e32 v2, 10, v22
	v_mul_lo_u16_e32 v3, 10, v130
	v_sub_u16_e32 v25, v63, v2
	v_sub_u16_e32 v131, v86, v3
	v_lshlrev_b32_sdwa v1, v1, v25 dst_sel:DWORD dst_unused:UNUSED_PAD src0_sel:DWORD src1_sel:BYTE_0
	v_lshlrev_b32_e32 v3, 4, v131
	global_load_dwordx4 v[15:18], v1, s[8:9]
	global_load_dwordx4 v[108:111], v3, s[8:9]
	v_mul_u32_u24_sdwa v1, v64, s0 dst_sel:DWORD dst_unused:UNUSED_PAD src0_sel:WORD_0 src1_sel:DWORD
	v_mul_u32_u24_sdwa v3, v81, s0 dst_sel:DWORD dst_unused:UNUSED_PAD src0_sel:WORD_0 src1_sel:DWORD
	v_lshrrev_b32_e32 v35, 19, v1
	v_lshrrev_b32_e32 v133, 19, v3
	v_mul_lo_u16_e32 v1, 10, v35
	v_mul_lo_u16_e32 v3, 10, v133
	v_sub_u16_e32 v38, v64, v1
	v_sub_u16_e32 v81, v81, v3
	v_lshlrev_b32_e32 v1, 4, v38
	v_lshlrev_b32_e32 v3, 4, v81
	global_load_dwordx4 v[88:91], v1, s[8:9]
	global_load_dwordx4 v[112:115], v3, s[8:9]
	v_mul_u32_u24_sdwa v1, v83, s0 dst_sel:DWORD dst_unused:UNUSED_PAD src0_sel:WORD_0 src1_sel:DWORD
	v_lshrrev_b32_e32 v39, 19, v1
	v_mul_lo_u16_e32 v1, 10, v39
	v_sub_u16_e32 v122, v83, v1
	v_lshlrev_b32_e32 v1, 4, v122
	global_load_dwordx4 v[92:95], v1, s[8:9]
	v_mul_u32_u24_sdwa v1, v85, s0 dst_sel:DWORD dst_unused:UNUSED_PAD src0_sel:WORD_0 src1_sel:DWORD
	v_lshrrev_b32_e32 v123, 19, v1
	v_mul_lo_u16_e32 v1, 10, v123
	v_sub_u16_e32 v124, v85, v1
	v_lshlrev_b32_e32 v1, 4, v124
	;; [unrolled: 6-line block ×5, first 2 shown]
	global_load_dwordx4 v[82:85], v1, s[8:9]
	ds_read2_b32 v[1:2], v72 offset0:104 offset1:204
	ds_read2_b32 v[19:20], v73 offset0:80 offset1:180
	;; [unrolled: 1-line block ×3, first 2 shown]
	v_mul_u32_u24_e32 v7, 0x78, v7
	v_mul_u32_u24_e32 v22, 0x78, v22
	s_movk_i32 s0, 0x89
	s_mov_b32 s1, 0x8889
	s_waitcnt vmcnt(9) lgkmcnt(2)
	v_mul_f32_e32 v132, v1, v12
	v_mul_f32_e32 v3, v116, v12
	v_fmac_f32_e32 v132, v116, v11
	v_fma_f32 v116, v1, v11, -v3
	s_waitcnt lgkmcnt(1)
	v_mul_f32_e32 v134, v19, v14
	v_mul_f32_e32 v1, v118, v14
	v_fmac_f32_e32 v134, v118, v13
	v_fma_f32 v118, v19, v13, -v1
	ds_read2_b32 v[11:12], v74 offset0:152 offset1:252
	s_waitcnt vmcnt(8)
	v_mul_f32_e32 v135, v2, v16
	v_mul_f32_e32 v1, v117, v16
	v_fmac_f32_e32 v135, v117, v15
	v_fma_f32 v117, v2, v15, -v1
	ds_read2_b32 v[1:2], v68 offset0:48 offset1:148
	v_mul_f32_e32 v136, v20, v18
	v_mul_f32_e32 v3, v119, v18
	v_fmac_f32_e32 v136, v119, v17
	v_fma_f32 v119, v20, v17, -v3
	ds_read2_b32 v[15:16], v76 offset0:64 offset1:164
	s_waitcnt vmcnt(6) lgkmcnt(1)
	v_mul_f32_e32 v137, v1, v89
	v_mul_f32_e32 v3, v120, v89
	v_fmac_f32_e32 v137, v120, v88
	v_fma_f32 v89, v1, v88, -v3
	v_mul_f32_e32 v120, v11, v91
	v_mul_f32_e32 v1, v52, v91
	v_fmac_f32_e32 v120, v52, v90
	v_fma_f32 v90, v11, v90, -v1
	s_waitcnt vmcnt(4)
	v_mul_f32_e32 v91, v2, v93
	v_mul_f32_e32 v1, v121, v93
	v_fmac_f32_e32 v91, v121, v92
	v_fma_f32 v93, v2, v92, -v1
	v_mul_f32_e32 v121, v12, v95
	ds_read2_b32 v[1:2], v75 offset0:120 offset1:220
	v_mul_f32_e32 v3, v53, v95
	v_fmac_f32_e32 v121, v53, v94
	v_fma_f32 v94, v12, v94, -v3
	ds_read2_b32 v[11:12], v69 offset0:96 offset1:196
	s_waitcnt vmcnt(3)
	v_mul_f32_e32 v3, v50, v97
	s_waitcnt lgkmcnt(1)
	v_mul_f32_e32 v5, v1, v97
	v_fma_f32 v20, v1, v96, -v3
	v_mul_f32_e32 v1, v48, v99
	s_waitcnt vmcnt(2)
	v_mul_f32_e32 v3, v51, v101
	s_waitcnt lgkmcnt(0)
	v_fma_f32 v32, v11, v98, -v1
	v_mul_f32_e32 v1, v2, v101
	v_fma_f32 v14, v2, v100, -v3
	v_mul_f32_e32 v2, v49, v103
	v_mul_f32_e32 v17, v11, v99
	;; [unrolled: 1-line block ×3, first 2 shown]
	v_fma_f32 v29, v12, v102, -v2
	ds_read2_b32 v[11:12], v77 offset0:40 offset1:140
	s_waitcnt vmcnt(1)
	v_mul_f32_e32 v3, v46, v105
	v_fma_f32 v18, v15, v104, -v3
	v_mul_f32_e32 v3, v44, v107
	v_mul_f32_e32 v2, v15, v105
	s_waitcnt lgkmcnt(0)
	v_mul_f32_e32 v15, v11, v107
	v_fma_f32 v31, v11, v106, -v3
	s_waitcnt vmcnt(0)
	v_mul_f32_e32 v11, v47, v83
	v_mul_f32_e32 v3, v16, v83
	v_fma_f32 v19, v16, v82, -v11
	v_mul_f32_e32 v16, v12, v85
	v_fmac_f32_e32 v15, v44, v106
	v_fmac_f32_e32 v16, v45, v84
	v_mul_f32_e32 v11, v45, v85
	ds_read2_b32 v[44:45], v78 offset0:112 offset1:212
	v_fma_f32 v33, v12, v84, -v11
	v_mul_f32_e32 v12, v42, v109
	v_mul_f32_e32 v11, v23, v109
	v_fma_f32 v23, v23, v108, -v12
	v_mul_f32_e32 v12, v40, v111
	v_mul_f32_e32 v27, v43, v113
	s_waitcnt lgkmcnt(0)
	v_mul_f32_e32 v21, v44, v111
	v_fma_f32 v59, v44, v110, -v12
	v_mul_f32_e32 v12, v24, v113
	v_fma_f32 v27, v24, v112, -v27
	v_mul_f32_e32 v24, v45, v115
	v_fmac_f32_e32 v21, v40, v110
	v_fmac_f32_e32 v24, v41, v114
	v_mul_f32_e32 v40, v41, v115
	v_add_f32_e32 v41, v132, v134
	v_fma_f32 v86, v45, v114, -v40
	v_add_f32_e32 v40, v34, v132
	v_fmac_f32_e32 v34, -0.5, v41
	v_mov_b32_e32 v84, 2
	v_fmac_f32_e32 v11, v42, v108
	v_lshlrev_b32_sdwa v9, v84, v9 dst_sel:DWORD dst_unused:UNUSED_PAD src0_sel:DWORD src1_sel:BYTE_0
	v_sub_f32_e32 v41, v116, v118
	v_mov_b32_e32 v42, v34
	v_add3_u32 v7, 0, v7, v9
	v_add_f32_e32 v40, v40, v134
	v_fmac_f32_e32 v42, 0xbf5db3d7, v41
	v_fmac_f32_e32 v34, 0x3f5db3d7, v41
	v_add_f32_e32 v41, v135, v136
	v_fmac_f32_e32 v5, v50, v96
	v_fmac_f32_e32 v1, v51, v100
	;; [unrolled: 1-line block ×4, first 2 shown]
	ds_read_b32 v9, v56
	ds_read_b32 v95, v57
	;; [unrolled: 1-line block ×10, first 2 shown]
	s_waitcnt lgkmcnt(0)
	s_barrier
	ds_write2_b32 v7, v40, v42 offset1:10
	v_add_f32_e32 v40, v55, v135
	v_fmac_f32_e32 v55, -0.5, v41
	v_lshlrev_b32_sdwa v25, v84, v25 dst_sel:DWORD dst_unused:UNUSED_PAD src0_sel:DWORD src1_sel:BYTE_0
	ds_write_b32 v7, v34 offset:80
	v_add3_u32 v22, 0, v22, v25
	v_add_f32_e32 v25, v40, v136
	v_sub_f32_e32 v34, v117, v119
	v_mov_b32_e32 v40, v55
	v_fmac_f32_e32 v40, 0xbf5db3d7, v34
	v_fmac_f32_e32 v55, 0x3f5db3d7, v34
	v_add_f32_e32 v34, v137, v120
	ds_write2_b32 v22, v25, v40 offset1:10
	v_add_f32_e32 v25, v30, v137
	v_fmac_f32_e32 v30, -0.5, v34
	v_mul_u32_u24_e32 v34, 0x78, v35
	v_lshlrev_b32_e32 v35, 2, v38
	v_add3_u32 v34, 0, v34, v35
	v_sub_f32_e32 v35, v89, v90
	v_mov_b32_e32 v38, v30
	v_add_f32_e32 v25, v25, v120
	v_fmac_f32_e32 v38, 0xbf5db3d7, v35
	v_fmac_f32_e32 v30, 0x3f5db3d7, v35
	v_add_f32_e32 v35, v91, v121
	ds_write_b32 v22, v55 offset:80
	ds_write2_b32 v34, v25, v38 offset1:10
	v_add_f32_e32 v25, v28, v91
	v_fmac_f32_e32 v28, -0.5, v35
	ds_write_b32 v34, v30 offset:80
	v_mul_u32_u24_e32 v30, 0x78, v39
	v_lshlrev_b32_e32 v35, 2, v122
	v_fmac_f32_e32 v17, v48, v98
	v_add3_u32 v30, 0, v30, v35
	v_sub_f32_e32 v35, v93, v94
	v_mov_b32_e32 v38, v28
	v_add_f32_e32 v25, v25, v121
	v_fmac_f32_e32 v38, 0xbf5db3d7, v35
	v_fmac_f32_e32 v28, 0x3f5db3d7, v35
	v_add_f32_e32 v35, v5, v17
	ds_write2_b32 v30, v25, v38 offset1:10
	v_add_f32_e32 v25, v26, v5
	v_fmac_f32_e32 v26, -0.5, v35
	ds_write_b32 v30, v28 offset:80
	v_mul_u32_u24_e32 v28, 0x78, v123
	v_lshlrev_b32_e32 v35, 2, v124
	v_add3_u32 v28, 0, v28, v35
	v_sub_f32_e32 v35, v20, v32
	v_mov_b32_e32 v38, v26
	v_add_f32_e32 v25, v25, v17
	v_fmac_f32_e32 v38, 0xbf5db3d7, v35
	v_fmac_f32_e32 v26, 0x3f5db3d7, v35
	v_add_f32_e32 v35, v1, v13
	ds_write2_b32 v28, v25, v38 offset1:10
	v_add_f32_e32 v25, v10, v1
	v_fmac_f32_e32 v10, -0.5, v35
	ds_write_b32 v28, v26 offset:80
	v_mul_u32_u24_e32 v26, 0x78, v125
	v_lshlrev_b32_e32 v35, 2, v87
	;; [unrolled: 13-line block ×3, first 2 shown]
	v_fmac_f32_e32 v3, v47, v82
	v_add3_u32 v10, 0, v10, v35
	v_sub_f32_e32 v35, v18, v31
	v_mov_b32_e32 v38, v8
	v_add_f32_e32 v25, v25, v15
	v_fmac_f32_e32 v38, 0xbf5db3d7, v35
	v_fmac_f32_e32 v8, 0x3f5db3d7, v35
	v_add_f32_e32 v35, v3, v16
	ds_write2_b32 v10, v25, v38 offset1:10
	v_add_f32_e32 v25, v6, v3
	v_fmac_f32_e32 v6, -0.5, v35
	ds_write_b32 v10, v8 offset:80
	v_mul_u32_u24_e32 v8, 0x78, v128
	v_lshlrev_b32_e32 v35, 2, v129
	v_add3_u32 v8, 0, v8, v35
	v_sub_f32_e32 v35, v19, v33
	v_mov_b32_e32 v38, v6
	v_add_f32_e32 v25, v25, v16
	v_fmac_f32_e32 v38, 0xbf5db3d7, v35
	v_fmac_f32_e32 v6, 0x3f5db3d7, v35
	v_add_f32_e32 v35, v11, v21
	ds_write2_b32 v8, v25, v38 offset1:10
	v_add_f32_e32 v25, v4, v11
	v_fmac_f32_e32 v4, -0.5, v35
	ds_write_b32 v8, v6 offset:80
	v_mul_u32_u24_e32 v6, 0x78, v130
	v_lshlrev_b32_e32 v35, 2, v131
	v_fmac_f32_e32 v12, v43, v112
	v_add3_u32 v6, 0, v6, v35
	v_sub_f32_e32 v35, v23, v59
	v_mov_b32_e32 v38, v4
	v_add_f32_e32 v25, v25, v21
	v_fmac_f32_e32 v38, 0xbf5db3d7, v35
	v_fmac_f32_e32 v4, 0x3f5db3d7, v35
	v_add_f32_e32 v35, v12, v24
	ds_write2_b32 v6, v25, v38 offset1:10
	v_add_f32_e32 v25, v0, v12
	v_fmac_f32_e32 v0, -0.5, v35
	ds_write_b32 v6, v4 offset:80
	v_mul_u32_u24_e32 v4, 0x78, v133
	v_lshlrev_b32_e32 v35, 2, v81
	v_add3_u32 v4, 0, v4, v35
	v_sub_f32_e32 v35, v27, v86
	v_mov_b32_e32 v38, v0
	v_add_f32_e32 v25, v25, v24
	v_fmac_f32_e32 v38, 0xbf5db3d7, v35
	ds_write2_b32 v4, v25, v38 offset1:10
	v_add_f32_e32 v38, v116, v118
	v_add_f32_e32 v25, v96, v116
	v_fmac_f32_e32 v96, -0.5, v38
	v_fmac_f32_e32 v0, 0x3f5db3d7, v35
	v_sub_f32_e32 v106, v132, v134
	ds_write_b32 v4, v0 offset:80
	v_mov_b32_e32 v0, v96
	v_add_f32_e32 v25, v25, v118
	v_fmac_f32_e32 v0, 0x3f5db3d7, v106
	v_fmac_f32_e32 v96, 0xbf5db3d7, v106
	s_waitcnt lgkmcnt(0)
	s_barrier
	v_add_u32_e32 v81, 0x400, v60
	v_add_u32_e32 v82, 0xa00, v60
	ds_read_b32 v92, v60
	ds_read_b32 v99, v61
	;; [unrolled: 1-line block ×6, first 2 shown]
	ds_read2_b32 v[56:57], v68 offset0:48 offset1:148
	ds_read2_b32 v[52:53], v75 offset0:120 offset1:220
	;; [unrolled: 1-line block ×12, first 2 shown]
	s_waitcnt lgkmcnt(0)
	s_barrier
	ds_write2_b32 v7, v25, v0 offset1:10
	ds_write_b32 v7, v96 offset:80
	v_add_f32_e32 v7, v117, v119
	v_add_f32_e32 v0, v104, v117
	v_fmac_f32_e32 v104, -0.5, v7
	v_sub_f32_e32 v7, v135, v136
	v_mov_b32_e32 v25, v104
	v_add_f32_e32 v0, v0, v119
	v_fmac_f32_e32 v25, 0x3f5db3d7, v7
	v_fmac_f32_e32 v104, 0xbf5db3d7, v7
	v_add_f32_e32 v7, v89, v90
	ds_write2_b32 v22, v0, v25 offset1:10
	v_add_f32_e32 v0, v103, v89
	v_fmac_f32_e32 v103, -0.5, v7
	ds_write_b32 v22, v104 offset:80
	v_sub_f32_e32 v7, v137, v120
	v_mov_b32_e32 v22, v103
	v_add_f32_e32 v0, v0, v90
	v_fmac_f32_e32 v22, 0x3f5db3d7, v7
	v_fmac_f32_e32 v103, 0xbf5db3d7, v7
	v_add_f32_e32 v7, v93, v94
	ds_write2_b32 v34, v0, v22 offset1:10
	v_add_f32_e32 v0, v100, v93
	v_fmac_f32_e32 v100, -0.5, v7
	v_sub_f32_e32 v7, v91, v121
	v_mov_b32_e32 v22, v100
	v_add_f32_e32 v0, v0, v94
	v_fmac_f32_e32 v22, 0x3f5db3d7, v7
	v_fmac_f32_e32 v100, 0xbf5db3d7, v7
	v_add_f32_e32 v7, v20, v32
	ds_write_b32 v34, v103 offset:80
	ds_write2_b32 v30, v0, v22 offset1:10
	v_add_f32_e32 v0, v102, v20
	v_fmac_f32_e32 v102, -0.5, v7
	v_sub_f32_e32 v5, v5, v17
	v_mov_b32_e32 v7, v102
	v_add_f32_e32 v0, v0, v32
	v_fmac_f32_e32 v7, 0x3f5db3d7, v5
	v_fmac_f32_e32 v102, 0xbf5db3d7, v5
	v_add_f32_e32 v5, v14, v29
	ds_write_b32 v30, v100 offset:80
	;; [unrolled: 10-line block ×3, first 2 shown]
	ds_write2_b32 v26, v0, v5 offset1:10
	v_add_f32_e32 v0, v101, v18
	v_fmac_f32_e32 v101, -0.5, v1
	v_sub_f32_e32 v1, v2, v15
	v_mov_b32_e32 v2, v101
	v_add_f32_e32 v5, v19, v33
	v_fmac_f32_e32 v2, 0x3f5db3d7, v1
	v_fmac_f32_e32 v101, 0xbf5db3d7, v1
	v_add_f32_e32 v1, v95, v19
	v_fmac_f32_e32 v95, -0.5, v5
	v_sub_f32_e32 v3, v3, v16
	v_mov_b32_e32 v5, v95
	v_add_f32_e32 v7, v23, v59
	v_fmac_f32_e32 v5, 0x3f5db3d7, v3
	v_fmac_f32_e32 v95, 0xbf5db3d7, v3
	;; [unrolled: 7-line block ×3, first 2 shown]
	v_add_f32_e32 v7, v105, v27
	v_fmac_f32_e32 v105, -0.5, v13
	v_add_f32_e32 v1, v1, v33
	v_sub_f32_e32 v12, v12, v24
	v_mov_b32_e32 v13, v105
	v_add_f32_e32 v0, v0, v31
	v_add_f32_e32 v3, v3, v59
	v_add_f32_e32 v7, v7, v86
	v_fmac_f32_e32 v13, 0x3f5db3d7, v12
	v_fmac_f32_e32 v105, 0xbf5db3d7, v12
	ds_write_b32 v26, v9 offset:80
	ds_write2_b32 v10, v0, v2 offset1:10
	ds_write_b32 v10, v101 offset:80
	ds_write2_b32 v8, v1, v5 offset1:10
	;; [unrolled: 2-line block ×4, first 2 shown]
	ds_write_b32 v4, v105 offset:80
	v_mul_lo_u16_sdwa v1, v63, s0 dst_sel:DWORD dst_unused:UNUSED_PAD src0_sel:BYTE_0 src1_sel:DWORD
	v_lshrrev_b16_e32 v100, 12, v1
	v_mul_lo_u16_e32 v1, 30, v100
	v_mov_b32_e32 v0, 9
	v_sub_u16_e32 v101, v63, v1
	v_mul_u32_u24_sdwa v1, v101, v0 dst_sel:DWORD dst_unused:UNUSED_PAD src0_sel:BYTE_0 src1_sel:DWORD
	v_lshlrev_b32_e32 v104, 3, v1
	v_mul_u32_u24_sdwa v1, v64, s1 dst_sel:DWORD dst_unused:UNUSED_PAD src0_sel:WORD_0 src1_sel:DWORD
	v_lshrrev_b32_e32 v95, 20, v1
	v_mul_lo_u16_e32 v1, 30, v95
	v_sub_u16_e32 v96, v64, v1
	s_waitcnt lgkmcnt(0)
	s_barrier
	global_load_dwordx4 v[24:27], v104, s[8:9] offset:160
	v_mul_u32_u24_e32 v1, 9, v96
	v_lshlrev_b32_e32 v105, 3, v1
	global_load_dwordx4 v[106:109], v105, s[8:9] offset:160
	v_mul_lo_u16_sdwa v1, v62, s0 dst_sel:DWORD dst_unused:UNUSED_PAD src0_sel:BYTE_0 src1_sel:DWORD
	v_lshrrev_b16_e32 v102, 12, v1
	v_mul_lo_u16_e32 v1, 30, v102
	v_sub_u16_e32 v103, v62, v1
	v_mul_u32_u24_sdwa v0, v103, v0 dst_sel:DWORD dst_unused:UNUSED_PAD src0_sel:BYTE_0 src1_sel:DWORD
	v_lshlrev_b32_e32 v28, 3, v0
	global_load_dwordx4 v[0:3], v28, s[8:9] offset:160
	global_load_dwordx4 v[4:7], v28, s[8:9] offset:176
	;; [unrolled: 1-line block ×6, first 2 shown]
	ds_read2_b32 v[112:113], v81 offset0:144 offset1:244
	ds_read2_b32 v[114:115], v82 offset0:60 offset1:160
	global_load_dwordx2 v[58:59], v28, s[8:9] offset:224
	global_load_dwordx4 v[32:35], v105, s[8:9] offset:192
	s_waitcnt vmcnt(9) lgkmcnt(1)
	v_mul_f32_e32 v89, v112, v25
	v_mul_f32_e32 v25, v87, v25
	v_fmac_f32_e32 v89, v87, v24
	v_fma_f32 v91, v112, v24, -v25
	v_mul_f32_e32 v24, v110, v27
	s_waitcnt lgkmcnt(0)
	v_fma_f32 v93, v114, v26, -v24
	global_load_dwordx4 v[28:31], v28, s[8:9] offset:208
	s_waitcnt vmcnt(9)
	v_mul_f32_e32 v24, v88, v107
	v_mul_f32_e32 v94, v114, v27
	;; [unrolled: 1-line block ×3, first 2 shown]
	v_fma_f32 v87, v113, v106, -v24
	v_mul_f32_e32 v24, v111, v109
	v_fmac_f32_e32 v94, v110, v26
	v_fmac_f32_e32 v86, v88, v106
	v_fma_f32 v88, v115, v108, -v24
	global_load_dwordx4 v[24:27], v104, s[8:9] offset:208
	v_mul_f32_e32 v90, v115, v109
	v_fmac_f32_e32 v90, v111, v108
	ds_read_b32 v110, v61
	ds_read_b32 v109, v65
	;; [unrolled: 1-line block ×6, first 2 shown]
	global_load_dwordx4 v[113:116], v105, s[8:9] offset:208
	s_waitcnt vmcnt(10) lgkmcnt(5)
	v_mul_f32_e32 v112, v110, v1
	v_mul_f32_e32 v1, v99, v1
	v_fmac_f32_e32 v112, v99, v0
	v_fma_f32 v99, v110, v0, -v1
	s_waitcnt lgkmcnt(4)
	v_mul_f32_e32 v110, v109, v3
	v_mul_f32_e32 v0, v98, v3
	v_fmac_f32_e32 v110, v98, v2
	v_fma_f32 v98, v109, v2, -v0
	s_waitcnt vmcnt(9)
	v_mul_f32_e32 v2, v97, v5
	s_waitcnt lgkmcnt(3)
	v_mul_f32_e32 v117, v108, v5
	v_fma_f32 v118, v108, v4, -v2
	global_load_dwordx2 v[108:109], v104, s[8:9] offset:224
	ds_read2_b32 v[0:1], v68 offset0:48 offset1:148
	global_load_dwordx2 v[104:105], v105, s[8:9] offset:224
	v_mul_f32_e32 v2, v56, v7
	v_fmac_f32_e32 v117, v97, v4
	s_waitcnt lgkmcnt(0)
	v_fma_f32 v120, v0, v6, -v2
	ds_read2_b32 v[2:3], v72 offset0:104 offset1:204
	v_mul_f32_e32 v119, v0, v7
	s_waitcnt vmcnt(10)
	v_mul_f32_e32 v0, v57, v11
	v_fmac_f32_e32 v119, v56, v6
	v_fma_f32 v4, v1, v10, -v0
	s_waitcnt lgkmcnt(0)
	v_mul_f32_e32 v56, v2, v9
	v_mul_f32_e32 v0, v54, v9
	;; [unrolled: 1-line block ×3, first 2 shown]
	v_fmac_f32_e32 v56, v54, v8
	v_fma_f32 v54, v2, v8, -v0
	ds_read2_b32 v[0:1], v75 offset0:120 offset1:220
	ds_read2_b32 v[5:6], v70 offset0:8 offset1:108
	v_fmac_f32_e32 v7, v57, v10
	s_waitcnt vmcnt(9)
	v_mul_f32_e32 v57, v3, v13
	v_mul_f32_e32 v2, v55, v13
	v_fmac_f32_e32 v57, v55, v12
	v_fma_f32 v12, v3, v12, -v2
	v_mul_f32_e32 v3, v52, v15
	ds_read2_b32 v[8:9], v76 offset0:64 offset1:164
	s_waitcnt lgkmcnt(2)
	v_mul_f32_e32 v2, v0, v15
	v_fma_f32 v0, v0, v14, -v3
	s_waitcnt vmcnt(8)
	v_mul_f32_e32 v3, v53, v17
	v_fmac_f32_e32 v2, v52, v14
	v_mul_f32_e32 v13, v1, v17
	v_fma_f32 v14, v1, v16, -v3
	v_mul_f32_e32 v1, v50, v19
	s_waitcnt lgkmcnt(1)
	v_fma_f32 v121, v5, v18, -v1
	s_waitcnt vmcnt(7)
	v_mul_f32_e32 v1, v51, v23
	v_fmac_f32_e32 v13, v53, v16
	v_mul_f32_e32 v53, v6, v23
	v_fma_f32 v23, v6, v22, -v1
	v_mul_f32_e32 v1, v48, v21
	s_waitcnt lgkmcnt(0)
	v_fma_f32 v97, v8, v20, -v1
	s_waitcnt vmcnt(5)
	v_mul_f32_e32 v1, v49, v33
	v_mul_f32_e32 v16, v8, v21
	ds_read2_b32 v[10:11], v73 offset0:80 offset1:180
	v_mul_f32_e32 v17, v9, v33
	v_fma_f32 v1, v9, v32, -v1
	ds_read2_b32 v[8:9], v69 offset0:96 offset1:196
	v_mul_f32_e32 v15, v5, v19
	v_fmac_f32_e32 v15, v50, v18
	v_fmac_f32_e32 v16, v48, v20
	v_mul_f32_e32 v3, v46, v35
	s_waitcnt lgkmcnt(1)
	v_mul_f32_e32 v6, v10, v35
	v_fma_f32 v3, v10, v34, -v3
	v_fmac_f32_e32 v17, v49, v32
	v_fmac_f32_e32 v53, v51, v22
	v_mul_f32_e32 v22, v41, v59
	s_waitcnt vmcnt(4)
	v_mul_f32_e32 v5, v47, v29
	v_mul_f32_e32 v18, v11, v29
	v_fma_f32 v19, v11, v28, -v5
	s_waitcnt lgkmcnt(0)
	v_mul_f32_e32 v20, v8, v31
	v_mul_f32_e32 v5, v44, v31
	v_fmac_f32_e32 v18, v47, v28
	v_fmac_f32_e32 v20, v44, v30
	v_fma_f32 v30, v8, v30, -v5
	ds_read2_b32 v[10:11], v74 offset0:152 offset1:252
	s_waitcnt vmcnt(3)
	v_mul_f32_e32 v28, v9, v27
	v_mul_f32_e32 v5, v45, v27
	v_fmac_f32_e32 v28, v45, v26
	v_fma_f32 v26, v9, v26, -v5
	ds_read2_b32 v[8:9], v77 offset0:40 offset1:140
	v_mul_f32_e32 v5, v42, v25
	s_waitcnt lgkmcnt(1)
	v_mul_f32_e32 v31, v10, v25
	v_fma_f32 v25, v10, v24, -v5
	s_waitcnt vmcnt(2)
	v_mul_f32_e32 v5, v43, v114
	v_mul_f32_e32 v10, v40, v116
	;; [unrolled: 1-line block ×3, first 2 shown]
	v_fma_f32 v5, v11, v113, -v5
	s_waitcnt lgkmcnt(0)
	v_fma_f32 v21, v8, v115, -v10
	ds_read2_b32 v[10:11], v78 offset0:112 offset1:212
	v_fmac_f32_e32 v31, v42, v24
	v_mul_f32_e32 v24, v8, v116
	v_mul_f32_e32 v8, v9, v59
	v_fma_f32 v9, v9, v58, -v22
	s_waitcnt vmcnt(1)
	v_mul_f32_e32 v22, v38, v109
	s_waitcnt lgkmcnt(0)
	v_fma_f32 v27, v10, v108, -v22
	s_waitcnt vmcnt(0)
	v_mul_f32_e32 v22, v39, v105
	v_fmac_f32_e32 v8, v41, v58
	v_mul_f32_e32 v33, v10, v109
	v_mul_f32_e32 v10, v11, v105
	v_fma_f32 v22, v11, v104, -v22
	v_sub_f32_e32 v11, v110, v119
	v_sub_f32_e32 v29, v20, v15
	v_add_f32_e32 v47, v14, v19
	v_fmac_f32_e32 v6, v46, v34
	v_add_f32_e32 v11, v11, v29
	v_sub_f32_e32 v29, v117, v13
	v_sub_f32_e32 v34, v8, v18
	v_add_f32_e32 v44, v13, v18
	v_fma_f32 v59, -0.5, v47, v99
	v_fmac_f32_e32 v10, v39, v104
	v_add_f32_e32 v29, v29, v34
	v_sub_f32_e32 v34, v118, v14
	v_sub_f32_e32 v35, v9, v19
	v_add_f32_e32 v39, v119, v15
	v_fma_f32 v58, -0.5, v44, v112
	v_sub_f32_e32 v47, v117, v8
	v_mov_b32_e32 v48, v59
	v_fmac_f32_e32 v33, v38, v108
	v_add_f32_e32 v34, v34, v35
	v_mul_u32_u24_e32 v35, 0x4b0, v102
	v_lshlrev_b32_sdwa v38, v84, v103 dst_sel:DWORD dst_unused:UNUSED_PAD src0_sel:DWORD src1_sel:BYTE_0
	v_fma_f32 v39, -0.5, v39, v92
	v_sub_f32_e32 v44, v118, v9
	v_mov_b32_e32 v45, v58
	v_fmac_f32_e32 v48, 0x3f737871, v47
	v_sub_f32_e32 v49, v13, v18
	v_fmac_f32_e32 v32, v43, v113
	v_fmac_f32_e32 v24, v40, v115
	v_add3_u32 v35, 0, v35, v38
	v_add_f32_e32 v38, v92, v110
	v_sub_f32_e32 v40, v98, v30
	v_mov_b32_e32 v41, v39
	v_add_f32_e32 v43, v112, v117
	v_fmac_f32_e32 v45, 0xbf737871, v44
	v_sub_f32_e32 v46, v14, v19
	v_fmac_f32_e32 v48, 0x3f167918, v49
	v_add_f32_e32 v38, v38, v119
	v_fmac_f32_e32 v41, 0xbf737871, v40
	v_sub_f32_e32 v42, v120, v121
	v_add_f32_e32 v43, v43, v13
	v_fmac_f32_e32 v45, 0xbf167918, v46
	v_fmac_f32_e32 v48, 0x3e9e377a, v34
	v_add_f32_e32 v38, v38, v15
	v_fmac_f32_e32 v41, 0xbf167918, v42
	v_add_f32_e32 v43, v43, v18
	v_fmac_f32_e32 v45, 0x3e9e377a, v29
	v_mul_f32_e32 v50, 0xbf167918, v48
	v_add_f32_e32 v38, v38, v20
	v_fmac_f32_e32 v41, 0x3e9e377a, v11
	v_add_f32_e32 v43, v43, v8
	v_fmac_f32_e32 v50, 0x3f4f1bbd, v45
	v_add_f32_e32 v51, v38, v43
	v_add_f32_e32 v52, v41, v50
	s_barrier
	ds_write2_b32 v35, v51, v52 offset1:30
	v_add_f32_e32 v51, v110, v20
	v_fmac_f32_e32 v92, -0.5, v51
	v_sub_f32_e32 v51, v119, v110
	v_sub_f32_e32 v52, v15, v20
	v_add_f32_e32 v51, v51, v52
	v_mov_b32_e32 v52, v92
	v_fmac_f32_e32 v52, 0x3f737871, v42
	v_fmac_f32_e32 v92, 0xbf737871, v42
	;; [unrolled: 1-line block ×6, first 2 shown]
	v_add_f32_e32 v51, v117, v8
	v_fmac_f32_e32 v112, -0.5, v51
	v_mov_b32_e32 v102, v112
	v_sub_f32_e32 v13, v13, v117
	v_sub_f32_e32 v8, v18, v8
	v_fmac_f32_e32 v102, 0x3f737871, v46
	v_fmac_f32_e32 v112, 0xbf737871, v46
	v_add_f32_e32 v8, v13, v8
	v_fmac_f32_e32 v102, 0xbf167918, v44
	v_fmac_f32_e32 v112, 0x3f167918, v44
	v_add_f32_e32 v13, v118, v9
	;; [unrolled: 3-line block ×3, first 2 shown]
	v_fmac_f32_e32 v99, -0.5, v13
	v_mov_b32_e32 v103, v99
	v_fmac_f32_e32 v59, 0xbf737871, v47
	v_sub_f32_e32 v13, v14, v118
	v_sub_f32_e32 v18, v19, v9
	v_fmac_f32_e32 v103, 0xbf737871, v49
	v_fmac_f32_e32 v58, 0x3f737871, v44
	;; [unrolled: 1-line block ×3, first 2 shown]
	v_add_f32_e32 v13, v13, v18
	v_fmac_f32_e32 v103, 0x3f167918, v47
	v_fmac_f32_e32 v99, 0x3f737871, v49
	;; [unrolled: 1-line block ×9, first 2 shown]
	v_mul_f32_e32 v29, 0xbf167918, v59
	v_fmac_f32_e32 v99, 0x3e9e377a, v13
	v_mul_f32_e32 v13, 0xbf737871, v103
	v_fmac_f32_e32 v39, 0x3e9e377a, v11
	v_fmac_f32_e32 v29, 0xbf4f1bbd, v58
	;; [unrolled: 1-line block ×3, first 2 shown]
	v_mul_f32_e32 v18, 0xbf737871, v99
	v_sub_f32_e32 v11, v38, v43
	v_add_f32_e32 v34, v39, v29
	v_fmac_f32_e32 v18, 0xbe9e377a, v112
	v_add_f32_e32 v51, v52, v13
	ds_write2_b32 v35, v34, v11 offset0:120 offset1:150
	v_sub_f32_e32 v11, v41, v50
	v_sub_f32_e32 v13, v52, v13
	ds_write2_b32 v35, v11, v13 offset0:180 offset1:210
	v_sub_f32_e32 v11, v92, v18
	v_sub_f32_e32 v13, v39, v29
	v_add_u32_e32 v34, 0x200, v35
	ds_write2_b32 v34, v11, v13 offset0:112 offset1:142
	v_sub_f32_e32 v11, v94, v7
	v_sub_f32_e32 v13, v28, v53
	v_add_f32_e32 v55, v92, v18
	v_add_f32_e32 v11, v11, v13
	v_sub_f32_e32 v13, v56, v16
	v_sub_f32_e32 v18, v33, v31
	v_add_f32_e32 v47, v97, v25
	v_add_f32_e32 v13, v13, v18
	v_sub_f32_e32 v18, v54, v97
	v_sub_f32_e32 v29, v27, v25
	v_mul_u32_u24_e32 v38, 0x4b0, v100
	v_add_f32_e32 v44, v16, v31
	v_fma_f32 v100, -0.5, v47, v91
	v_add_f32_e32 v18, v18, v29
	v_lshlrev_b32_sdwa v29, v84, v101 dst_sel:DWORD dst_unused:UNUSED_PAD src0_sel:DWORD src1_sel:BYTE_0
	v_add_f32_e32 v39, v7, v53
	v_fma_f32 v84, -0.5, v44, v89
	v_sub_f32_e32 v47, v56, v33
	v_mov_b32_e32 v101, v100
	v_fma_f32 v39, -0.5, v39, v85
	v_sub_f32_e32 v44, v54, v27
	v_mov_b32_e32 v92, v84
	v_fmac_f32_e32 v101, 0x3f737871, v47
	v_sub_f32_e32 v49, v16, v31
	v_add3_u32 v29, 0, v38, v29
	v_add_f32_e32 v38, v85, v94
	v_sub_f32_e32 v40, v93, v26
	v_mov_b32_e32 v41, v39
	v_add_f32_e32 v43, v89, v56
	v_fmac_f32_e32 v92, 0xbf737871, v44
	v_sub_f32_e32 v46, v97, v25
	v_fmac_f32_e32 v101, 0x3f167918, v49
	v_add_f32_e32 v38, v38, v7
	v_fmac_f32_e32 v41, 0xbf737871, v40
	v_sub_f32_e32 v42, v4, v23
	v_add_f32_e32 v43, v43, v16
	v_fmac_f32_e32 v92, 0xbf167918, v46
	v_fmac_f32_e32 v101, 0x3e9e377a, v18
	v_add_f32_e32 v38, v38, v53
	v_fmac_f32_e32 v41, 0xbf167918, v42
	v_add_f32_e32 v43, v43, v31
	v_fmac_f32_e32 v92, 0x3e9e377a, v13
	v_mul_f32_e32 v50, 0xbf167918, v101
	v_add_f32_e32 v38, v38, v28
	v_fmac_f32_e32 v41, 0x3e9e377a, v11
	v_add_f32_e32 v43, v43, v33
	v_fmac_f32_e32 v50, 0x3f4f1bbd, v92
	ds_write2_b32 v35, v51, v55 offset0:60 offset1:90
	v_add_f32_e32 v51, v38, v43
	v_add_f32_e32 v52, v41, v50
	ds_write2_b32 v29, v51, v52 offset1:30
	v_add_f32_e32 v51, v94, v28
	v_fmac_f32_e32 v85, -0.5, v51
	v_sub_f32_e32 v51, v7, v94
	v_sub_f32_e32 v52, v53, v28
	v_add_f32_e32 v51, v51, v52
	v_mov_b32_e32 v52, v85
	v_fmac_f32_e32 v52, 0x3f737871, v42
	v_fmac_f32_e32 v85, 0xbf737871, v42
	;; [unrolled: 1-line block ×6, first 2 shown]
	v_add_f32_e32 v51, v56, v33
	v_fmac_f32_e32 v89, -0.5, v51
	v_sub_f32_e32 v31, v31, v33
	v_mov_b32_e32 v33, v89
	v_sub_f32_e32 v16, v16, v56
	v_fmac_f32_e32 v33, 0x3f737871, v46
	v_fmac_f32_e32 v89, 0xbf737871, v46
	v_add_f32_e32 v16, v16, v31
	v_fmac_f32_e32 v33, 0xbf167918, v44
	v_fmac_f32_e32 v89, 0x3f167918, v44
	;; [unrolled: 1-line block ×4, first 2 shown]
	v_add_f32_e32 v16, v54, v27
	v_add_f32_e32 v104, v91, v54
	v_fmac_f32_e32 v91, -0.5, v16
	v_mov_b32_e32 v105, v91
	v_fmac_f32_e32 v100, 0xbf737871, v47
	v_sub_f32_e32 v16, v97, v54
	v_sub_f32_e32 v31, v25, v27
	v_fmac_f32_e32 v105, 0xbf737871, v49
	v_fmac_f32_e32 v84, 0x3f737871, v44
	;; [unrolled: 1-line block ×3, first 2 shown]
	v_add_f32_e32 v16, v16, v31
	v_fmac_f32_e32 v105, 0x3f167918, v47
	v_fmac_f32_e32 v91, 0x3f737871, v49
	;; [unrolled: 1-line block ×9, first 2 shown]
	v_mul_f32_e32 v13, 0xbf167918, v100
	v_fmac_f32_e32 v91, 0x3e9e377a, v16
	v_mul_f32_e32 v16, 0xbf737871, v105
	v_fmac_f32_e32 v39, 0x3e9e377a, v11
	v_fmac_f32_e32 v13, 0xbf4f1bbd, v84
	;; [unrolled: 1-line block ×3, first 2 shown]
	v_mul_f32_e32 v31, 0xbf737871, v91
	v_sub_f32_e32 v11, v38, v43
	v_add_f32_e32 v18, v39, v13
	v_fmac_f32_e32 v31, 0xbe9e377a, v89
	v_add_f32_e32 v51, v52, v16
	ds_write2_b32 v29, v18, v11 offset0:120 offset1:150
	v_sub_f32_e32 v11, v41, v50
	v_sub_f32_e32 v16, v52, v16
	ds_write2_b32 v29, v11, v16 offset0:180 offset1:210
	v_sub_f32_e32 v11, v85, v31
	v_sub_f32_e32 v13, v39, v13
	v_add_u32_e32 v38, 0x200, v29
	ds_write2_b32 v38, v11, v13 offset0:112 offset1:142
	v_sub_f32_e32 v11, v90, v2
	v_sub_f32_e32 v13, v24, v6
	v_add_f32_e32 v11, v11, v13
	v_sub_f32_e32 v13, v57, v17
	v_sub_f32_e32 v16, v10, v32
	v_add_f32_e32 v13, v13, v16
	;; [unrolled: 3-line block ×3, first 2 shown]
	v_add_f32_e32 v54, v85, v31
	v_add_f32_e32 v16, v16, v18
	v_mul_u32_u24_e32 v18, 0x4b0, v95
	v_lshlrev_b32_e32 v31, 2, v96
	v_add_f32_e32 v44, v17, v32
	v_fma_f32 v96, -0.5, v47, v87
	v_add3_u32 v39, 0, v18, v31
	v_add_f32_e32 v31, v2, v6
	v_fma_f32 v85, -0.5, v44, v86
	v_sub_f32_e32 v47, v57, v10
	v_mov_b32_e32 v108, v96
	v_fma_f32 v31, -0.5, v31, v83
	v_sub_f32_e32 v44, v12, v22
	v_mov_b32_e32 v95, v85
	v_fmac_f32_e32 v108, 0x3f737871, v47
	v_sub_f32_e32 v49, v17, v32
	v_add_f32_e32 v18, v83, v90
	v_sub_f32_e32 v40, v88, v21
	v_mov_b32_e32 v41, v31
	v_add_f32_e32 v43, v86, v57
	v_fmac_f32_e32 v95, 0xbf737871, v44
	v_sub_f32_e32 v46, v1, v5
	v_fmac_f32_e32 v108, 0x3f167918, v49
	v_add_f32_e32 v18, v18, v2
	v_fmac_f32_e32 v41, 0xbf737871, v40
	v_sub_f32_e32 v42, v0, v3
	v_add_f32_e32 v43, v43, v17
	v_fmac_f32_e32 v95, 0xbf167918, v46
	v_fmac_f32_e32 v108, 0x3e9e377a, v16
	v_add_f32_e32 v18, v18, v6
	v_fmac_f32_e32 v41, 0xbf167918, v42
	v_add_f32_e32 v43, v43, v32
	v_fmac_f32_e32 v95, 0x3e9e377a, v13
	v_mul_f32_e32 v50, 0xbf167918, v108
	v_add_f32_e32 v18, v18, v24
	v_fmac_f32_e32 v41, 0x3e9e377a, v11
	v_add_f32_e32 v43, v43, v10
	v_fmac_f32_e32 v50, 0x3f4f1bbd, v95
	ds_write2_b32 v29, v51, v54 offset0:60 offset1:90
	v_add_f32_e32 v51, v18, v43
	v_add_f32_e32 v52, v41, v50
	ds_write2_b32 v39, v51, v52 offset1:30
	v_add_f32_e32 v51, v90, v24
	v_fmac_f32_e32 v83, -0.5, v51
	v_sub_f32_e32 v51, v2, v90
	v_sub_f32_e32 v52, v6, v24
	v_add_f32_e32 v51, v51, v52
	v_mov_b32_e32 v52, v83
	v_fmac_f32_e32 v52, 0x3f737871, v42
	v_fmac_f32_e32 v83, 0xbf737871, v42
	;; [unrolled: 1-line block ×6, first 2 shown]
	v_add_f32_e32 v51, v57, v10
	v_fmac_f32_e32 v86, -0.5, v51
	v_mov_b32_e32 v109, v86
	v_sub_f32_e32 v17, v17, v57
	v_sub_f32_e32 v10, v32, v10
	v_fmac_f32_e32 v109, 0x3f737871, v46
	v_fmac_f32_e32 v86, 0xbf737871, v46
	v_add_f32_e32 v10, v17, v10
	v_fmac_f32_e32 v109, 0xbf167918, v44
	v_fmac_f32_e32 v86, 0x3f167918, v44
	v_fmac_f32_e32 v109, 0x3e9e377a, v10
	v_fmac_f32_e32 v86, 0x3e9e377a, v10
	v_add_f32_e32 v10, v12, v22
	v_add_f32_e32 v113, v87, v12
	v_fmac_f32_e32 v87, -0.5, v10
	v_mov_b32_e32 v114, v87
	v_fmac_f32_e32 v96, 0xbf737871, v47
	v_add_f32_e32 v8, v8, v14
	v_sub_f32_e32 v10, v1, v12
	v_sub_f32_e32 v12, v5, v22
	v_fmac_f32_e32 v114, 0xbf737871, v49
	v_fmac_f32_e32 v85, 0x3f737871, v44
	;; [unrolled: 1-line block ×3, first 2 shown]
	v_add_f32_e32 v8, v8, v19
	v_add_f32_e32 v10, v10, v12
	v_fmac_f32_e32 v114, 0x3f167918, v47
	v_fmac_f32_e32 v87, 0x3f737871, v49
	;; [unrolled: 1-line block ×5, first 2 shown]
	v_add_f32_e32 v115, v8, v9
	v_add_f32_e32 v8, v111, v98
	v_fmac_f32_e32 v114, 0x3e9e377a, v10
	v_fmac_f32_e32 v87, 0xbf167918, v47
	;; [unrolled: 1-line block ×4, first 2 shown]
	v_mul_f32_e32 v13, 0xbf167918, v96
	v_add_f32_e32 v8, v8, v120
	v_fmac_f32_e32 v87, 0x3e9e377a, v10
	v_mul_f32_e32 v10, 0xbf737871, v114
	v_fmac_f32_e32 v31, 0x3e9e377a, v11
	v_fmac_f32_e32 v13, 0xbf4f1bbd, v85
	v_add_f32_e32 v8, v8, v121
	v_fmac_f32_e32 v10, 0x3e9e377a, v109
	v_mul_f32_e32 v12, 0xbf737871, v87
	v_sub_f32_e32 v11, v18, v43
	v_add_f32_e32 v16, v31, v13
	v_add_f32_e32 v117, v8, v30
	;; [unrolled: 1-line block ×3, first 2 shown]
	v_fmac_f32_e32 v12, 0xbe9e377a, v86
	v_add_f32_e32 v17, v52, v10
	ds_write2_b32 v39, v16, v11 offset0:120 offset1:150
	v_sub_f32_e32 v11, v41, v50
	v_sub_f32_e32 v10, v52, v10
	v_fma_f32 v118, -0.5, v8, v111
	v_add_f32_e32 v32, v83, v12
	ds_write2_b32 v39, v11, v10 offset0:180 offset1:210
	v_sub_f32_e32 v10, v83, v12
	v_sub_f32_e32 v11, v31, v13
	v_add_u32_e32 v40, 0x200, v39
	v_sub_f32_e32 v41, v110, v20
	v_sub_f32_e32 v83, v119, v15
	v_mov_b32_e32 v119, v118
	ds_write2_b32 v40, v10, v11 offset0:112 offset1:142
	v_sub_f32_e32 v10, v98, v120
	v_sub_f32_e32 v11, v30, v121
	v_fmac_f32_e32 v119, 0x3f737871, v41
	v_add_f32_e32 v110, v10, v11
	v_mul_f32_e32 v116, 0x3f4f1bbd, v48
	v_fmac_f32_e32 v119, 0x3f167918, v83
	v_fmac_f32_e32 v116, 0x3f167918, v45
	;; [unrolled: 1-line block ×3, first 2 shown]
	ds_write2_b32 v39, v17, v32 offset0:60 offset1:90
	s_waitcnt lgkmcnt(0)
	s_barrier
	ds_read_b32 v8, v80
	ds_read_b32 v54, v60
	ds_read_b32 v55, v61
	ds_read_b32 v57, v65
	ds_read_b32 v52, v79
	ds_read_b32 v56, v66
	ds_read2_b32 v[15:16], v68 offset0:48 offset1:148
	ds_read2_b32 v[9:10], v75 offset0:120 offset1:220
	;; [unrolled: 1-line block ×12, first 2 shown]
	v_add_f32_e32 v79, v117, v115
	v_add_f32_e32 v80, v119, v116
	s_waitcnt lgkmcnt(0)
	s_barrier
	ds_write2_b32 v35, v79, v80 offset1:30
	v_add_f32_e32 v79, v98, v30
	v_fmac_f32_e32 v111, -0.5, v79
	v_sub_f32_e32 v79, v120, v98
	v_sub_f32_e32 v30, v121, v30
	v_add_f32_e32 v30, v79, v30
	v_mov_b32_e32 v79, v111
	v_fmac_f32_e32 v79, 0xbf737871, v83
	v_fmac_f32_e32 v111, 0x3f737871, v83
	;; [unrolled: 1-line block ×6, first 2 shown]
	v_mul_f32_e32 v41, 0xbf4f1bbd, v59
	v_fmac_f32_e32 v79, 0x3e9e377a, v30
	v_fmac_f32_e32 v111, 0x3e9e377a, v30
	v_mul_f32_e32 v30, 0x3e9e377a, v103
	v_mul_f32_e32 v80, 0xbe9e377a, v99
	v_fmac_f32_e32 v118, 0x3e9e377a, v110
	v_fmac_f32_e32 v41, 0x3f167918, v58
	;; [unrolled: 1-line block ×4, first 2 shown]
	v_sub_f32_e32 v58, v117, v115
	v_add_f32_e32 v59, v118, v41
	v_add_f32_e32 v98, v79, v30
	;; [unrolled: 1-line block ×3, first 2 shown]
	ds_write2_b32 v35, v59, v58 offset0:120 offset1:150
	v_sub_f32_e32 v58, v119, v116
	v_sub_f32_e32 v30, v79, v30
	ds_write2_b32 v35, v98, v99 offset0:60 offset1:90
	ds_write2_b32 v35, v58, v30 offset0:180 offset1:210
	v_sub_f32_e32 v30, v111, v80
	v_sub_f32_e32 v35, v118, v41
	ds_write2_b32 v34, v30, v35 offset0:112 offset1:142
	v_sub_f32_e32 v30, v93, v4
	v_sub_f32_e32 v34, v26, v23
	v_add_f32_e32 v30, v30, v34
	v_add_f32_e32 v34, v104, v97
	;; [unrolled: 1-line block ×4, first 2 shown]
	v_fma_f32 v34, -0.5, v34, v107
	v_sub_f32_e32 v28, v94, v28
	v_mov_b32_e32 v35, v34
	v_sub_f32_e32 v7, v7, v53
	v_fmac_f32_e32 v35, 0x3f737871, v28
	v_fmac_f32_e32 v34, 0xbf737871, v28
	;; [unrolled: 1-line block ×3, first 2 shown]
	v_add_f32_e32 v41, v107, v93
	v_fmac_f32_e32 v34, 0xbf167918, v7
	v_fmac_f32_e32 v35, 0x3e9e377a, v30
	v_add_f32_e32 v41, v41, v4
	v_fmac_f32_e32 v34, 0x3e9e377a, v30
	v_add_f32_e32 v30, v93, v26
	v_add_f32_e32 v41, v41, v23
	v_fmac_f32_e32 v107, -0.5, v30
	v_sub_f32_e32 v4, v4, v93
	v_sub_f32_e32 v23, v23, v26
	v_add_f32_e32 v4, v4, v23
	v_mov_b32_e32 v23, v107
	v_fmac_f32_e32 v23, 0xbf737871, v7
	v_fmac_f32_e32 v107, 0x3f737871, v7
	;; [unrolled: 1-line block ×6, first 2 shown]
	v_mul_f32_e32 v4, 0x3e9e377a, v105
	v_fmac_f32_e32 v4, 0x3f737871, v33
	v_sub_f32_e32 v2, v2, v6
	v_sub_f32_e32 v6, v88, v0
	;; [unrolled: 1-line block ×3, first 2 shown]
	v_add_f32_e32 v41, v41, v26
	v_mul_f32_e32 v26, 0xbf4f1bbd, v100
	v_add_f32_e32 v6, v6, v33
	v_add_f32_e32 v33, v0, v3
	v_fmac_f32_e32 v26, 0x3f167918, v84
	v_fma_f32 v33, -0.5, v33, v106
	v_add_f32_e32 v30, v34, v26
	v_sub_f32_e32 v26, v34, v26
	v_sub_f32_e32 v24, v90, v24
	v_mov_b32_e32 v34, v33
	v_fmac_f32_e32 v34, 0x3f737871, v24
	v_fmac_f32_e32 v33, 0xbf737871, v24
	v_add_f32_e32 v25, v25, v27
	v_mul_f32_e32 v27, 0x3f4f1bbd, v101
	v_fmac_f32_e32 v34, 0x3f167918, v2
	v_fmac_f32_e32 v33, 0xbf167918, v2
	;; [unrolled: 1-line block ×5, first 2 shown]
	v_add_f32_e32 v6, v106, v88
	v_add_f32_e32 v58, v35, v27
	v_sub_f32_e32 v27, v35, v27
	v_add_f32_e32 v35, v88, v21
	v_add_f32_e32 v6, v6, v0
	v_fmac_f32_e32 v106, -0.5, v35
	v_sub_f32_e32 v0, v0, v88
	v_add_f32_e32 v6, v6, v3
	v_sub_f32_e32 v3, v3, v21
	v_add_f32_e32 v0, v0, v3
	v_mov_b32_e32 v3, v106
	v_fmac_f32_e32 v3, 0xbf737871, v2
	v_fmac_f32_e32 v106, 0x3f737871, v2
	;; [unrolled: 1-line block ×4, first 2 shown]
	v_mul_f32_e32 v7, 0xbe9e377a, v91
	v_fmac_f32_e32 v3, 0x3e9e377a, v0
	v_fmac_f32_e32 v106, 0x3e9e377a, v0
	v_add_f32_e32 v0, v113, v1
	v_fmac_f32_e32 v7, 0x3f737871, v89
	v_add_f32_e32 v6, v6, v21
	v_add_f32_e32 v0, v0, v5
	v_mul_f32_e32 v1, 0x3f4f1bbd, v108
	v_mul_f32_e32 v2, 0x3e9e377a, v114
	;; [unrolled: 1-line block ×4, first 2 shown]
	v_add_f32_e32 v53, v41, v25
	v_add_f32_e32 v28, v23, v4
	v_sub_f32_e32 v4, v23, v4
	v_add_f32_e32 v23, v107, v7
	v_add_f32_e32 v0, v0, v22
	v_fmac_f32_e32 v1, 0x3f167918, v95
	v_fmac_f32_e32 v2, 0x3f737871, v109
	;; [unrolled: 1-line block ×4, first 2 shown]
	ds_write2_b32 v29, v53, v58 offset1:30
	v_sub_f32_e32 v25, v41, v25
	v_sub_f32_e32 v7, v107, v7
	v_add_f32_e32 v22, v6, v0
	v_sub_f32_e32 v0, v6, v0
	v_add_f32_e32 v6, v34, v1
	;; [unrolled: 2-line block ×5, first 2 shown]
	v_sub_f32_e32 v21, v33, v21
	ds_write2_b32 v29, v28, v23 offset0:60 offset1:90
	ds_write2_b32 v29, v30, v25 offset0:120 offset1:150
	;; [unrolled: 1-line block ×4, first 2 shown]
	ds_write2_b32 v39, v22, v6 offset1:30
	ds_write2_b32 v39, v24, v3 offset0:60 offset1:90
	ds_write2_b32 v39, v34, v0 offset0:120 offset1:150
	;; [unrolled: 1-line block ×4, first 2 shown]
	s_waitcnt lgkmcnt(0)
	s_barrier
	s_and_saveexec_b64 s[0:1], vcc
	s_cbranch_execz .LBB0_15
; %bb.14:
	v_mul_i32_i24_e32 v28, 9, v64
	v_mov_b32_e32 v29, 0
	v_lshlrev_b64 v[0:1], 3, v[28:29]
	v_mov_b32_e32 v30, s9
	v_add_co_u32_e32 v33, vcc, s8, v0
	v_addc_co_u32_e32 v34, vcc, v30, v1, vcc
	global_load_dwordx4 v[0:3], v[33:34], off offset:2320
	global_load_dwordx4 v[4:7], v[33:34], off offset:2336
	;; [unrolled: 1-line block ×4, first 2 shown]
	global_load_dwordx2 v[58:59], v[33:34], off offset:2384
	v_mul_i32_i24_e32 v33, 0xffffffdc, v64
	ds_read2_b32 v[87:88], v82 offset0:60 offset1:160
	ds_read2_b32 v[34:35], v75 offset0:120 offset1:220
	;; [unrolled: 1-line block ×9, first 2 shown]
	v_add_u32_e32 v33, v71, v33
	ds_read_b32 v33, v33
	v_mul_i32_i24_e32 v53, 0xffffffdc, v63
	s_movk_i32 s4, 0xa8c
	s_waitcnt vmcnt(4)
	v_mul_f32_e32 v64, v51, v3
	s_waitcnt vmcnt(3)
	v_mul_f32_e32 v71, v9, v7
	;; [unrolled: 2-line block ×4, first 2 shown]
	s_waitcnt lgkmcnt(9)
	v_mul_f32_e32 v99, v88, v3
	s_waitcnt lgkmcnt(7)
	v_mul_f32_e32 v24, v40, v24
	v_mul_f32_e32 v100, v34, v7
	s_waitcnt lgkmcnt(6)
	v_mul_f32_e32 v101, v38, v28
	s_waitcnt lgkmcnt(5)
	;; [unrolled: 2-line block ×4, first 2 shown]
	v_mul_f32_e32 v106, v1, v98
	v_mul_f32_e32 v3, v47, v5
	s_waitcnt vmcnt(0)
	v_mul_f32_e32 v5, v49, v59
	v_mul_f32_e32 v7, v45, v26
	;; [unrolled: 1-line block ×3, first 2 shown]
	v_fma_f32 v26, v2, v88, -v64
	v_fma_f32 v34, v6, v34, -v71
	;; [unrolled: 1-line block ×4, first 2 shown]
	v_mul_f32_e32 v104, v59, v94
	v_mul_f32_e32 v105, v22, v96
	v_fmac_f32_e32 v99, v51, v2
	v_fmac_f32_e32 v102, v47, v4
	;; [unrolled: 1-line block ×3, first 2 shown]
	v_fma_f32 v2, v4, v90, -v3
	v_fma_f32 v4, v58, v94, -v5
	;; [unrolled: 1-line block ×3, first 2 shown]
	v_sub_f32_e32 v1, v26, v34
	v_sub_f32_e32 v3, v40, v38
	v_add_f32_e32 v5, v34, v38
	v_mul_f32_e32 v22, v43, v22
	v_fmac_f32_e32 v103, v45, v25
	v_fmac_f32_e32 v104, v49, v58
	v_fmac_f32_e32 v105, v43, v21
	v_add_f32_e32 v45, v1, v3
	s_waitcnt lgkmcnt(0)
	v_fma_f32 v47, -0.5, v5, v33
	v_sub_f32_e32 v3, v34, v26
	v_sub_f32_e32 v5, v38, v40
	v_fmac_f32_e32 v24, v13, v23
	v_fmac_f32_e32 v101, v11, v27
	v_fma_f32 v11, v21, v96, -v22
	v_sub_f32_e32 v13, v102, v103
	v_sub_f32_e32 v21, v104, v105
	v_add_f32_e32 v5, v3, v5
	v_add_f32_e32 v3, v26, v40
	;; [unrolled: 1-line block ×3, first 2 shown]
	v_fma_f32 v90, -0.5, v3, v33
	v_sub_f32_e32 v3, v103, v102
	v_sub_f32_e32 v21, v105, v104
	v_fmac_f32_e32 v100, v9, v6
	v_fma_f32 v9, v25, v92, -v7
	v_add_f32_e32 v22, v103, v105
	v_add_f32_e32 v21, v3, v21
	;; [unrolled: 1-line block ×3, first 2 shown]
	v_fma_f32 v49, -0.5, v22, v106
	v_fma_f32 v94, -0.5, v3, v106
	v_sub_f32_e32 v3, v9, v2
	v_sub_f32_e32 v22, v11, v4
	;; [unrolled: 1-line block ×6, first 2 shown]
	v_mov_b32_e32 v58, v47
	v_mov_b32_e32 v92, v90
	v_add_f32_e32 v22, v3, v22
	v_add_f32_e32 v3, v2, v4
	v_sub_f32_e32 v25, v9, v11
	v_add_f32_e32 v32, v9, v11
	v_add_f32_e32 v27, v27, v28
	v_fmac_f32_e32 v58, 0xbf737871, v6
	v_fmac_f32_e32 v92, 0x3f737871, v7
	v_mov_b32_e32 v96, v94
	v_fma_f32 v98, -0.5, v3, v0
	v_fmac_f32_e32 v90, 0xbf737871, v7
	v_fmac_f32_e32 v47, 0x3f737871, v6
	v_mul_i32_i24_e32 v28, 9, v63
	v_sub_f32_e32 v23, v2, v4
	v_fma_f32 v51, -0.5, v32, v0
	v_fmac_f32_e32 v58, 0xbf167918, v7
	v_sub_f32_e32 v64, v103, v105
	v_fmac_f32_e32 v92, 0xbf167918, v6
	v_fmac_f32_e32 v96, 0xbf737871, v25
	v_mov_b32_e32 v107, v98
	v_fmac_f32_e32 v90, 0x3f167918, v6
	v_fmac_f32_e32 v94, 0x3f737871, v25
	;; [unrolled: 1-line block ×3, first 2 shown]
	v_lshlrev_b64 v[6:7], 3, v[28:29]
	v_sub_f32_e32 v43, v102, v104
	v_mov_b32_e32 v59, v51
	v_fmac_f32_e32 v96, 0x3f167918, v23
	v_fmac_f32_e32 v107, 0x3f737871, v64
	;; [unrolled: 1-line block ×4, first 2 shown]
	v_mov_b32_e32 v32, v49
	v_fmac_f32_e32 v59, 0xbf737871, v43
	v_fmac_f32_e32 v96, 0x3e9e377a, v21
	;; [unrolled: 1-line block ×5, first 2 shown]
	v_add_co_u32_e32 v21, vcc, s8, v6
	v_fmac_f32_e32 v32, 0x3f737871, v23
	v_fmac_f32_e32 v59, 0xbf167918, v64
	;; [unrolled: 1-line block ×4, first 2 shown]
	v_addc_co_u32_e32 v22, vcc, v30, v7, vcc
	v_fmac_f32_e32 v32, 0x3f167918, v25
	v_fmac_f32_e32 v59, 0x3e9e377a, v27
	;; [unrolled: 1-line block ×3, first 2 shown]
	global_load_dwordx4 v[71:74], v[21:22], off offset:2320
	global_load_dwordx4 v[75:78], v[21:22], off offset:2336
	;; [unrolled: 1-line block ×4, first 2 shown]
	v_add_f32_e32 v6, v26, v33
	v_fmac_f32_e32 v32, 0x3e9e377a, v13
	v_mul_f32_e32 v88, 0xbf4f1bbd, v59
	v_fmac_f32_e32 v49, 0xbf167918, v25
	v_add_f32_e32 v6, v34, v6
	v_sub_f32_e32 v25, v26, v40
	v_sub_f32_e32 v26, v34, v38
	v_mul_f32_e32 v34, 0xbf167918, v59
	v_fmac_f32_e32 v88, 0x3f167918, v32
	v_fmac_f32_e32 v34, 0xbf4f1bbd, v32
	global_load_dwordx2 v[32:33], v[21:22], off offset:2384
	v_add_f32_e32 v0, v2, v0
	v_add_f32_e32 v0, v9, v0
	v_add_f32_e32 v0, v11, v0
	v_add_f32_e32 v6, v38, v6
	v_add_f32_e32 v11, v4, v0
	v_sub_f32_e32 v0, v99, v100
	v_sub_f32_e32 v2, v24, v101
	v_fmac_f32_e32 v51, 0x3f737871, v43
	v_add_f32_e32 v23, v40, v6
	v_add_f32_e32 v6, v0, v2
	v_sub_f32_e32 v2, v100, v99
	v_sub_f32_e32 v4, v101, v24
	v_fmac_f32_e32 v51, 0x3f167918, v64
	v_add_f32_e32 v0, v100, v101
	v_add_f32_e32 v4, v2, v4
	;; [unrolled: 1-line block ×3, first 2 shown]
	v_fmac_f32_e32 v51, 0x3e9e377a, v27
	v_fma_f32 v27, -0.5, v0, v8
	v_fma_f32 v38, -0.5, v2, v8
	v_add_f32_e32 v8, v8, v99
	v_add_f32_e32 v8, v8, v100
	v_fmac_f32_e32 v49, 0x3e9e377a, v13
	v_mul_f32_e32 v13, 0x3f4f1bbd, v51
	v_mul_f32_e32 v51, 0xbf167918, v51
	v_add_f32_e32 v8, v8, v101
	v_fmac_f32_e32 v13, 0x3f167918, v49
	v_mov_b32_e32 v29, v27
	v_fmac_f32_e32 v51, 0x3f4f1bbd, v49
	v_add_f32_e32 v49, v24, v8
	v_add_f32_e32 v8, v102, v106
	v_fmac_f32_e32 v29, 0x3f737871, v25
	v_add_f32_e32 v8, v103, v8
	v_fmac_f32_e32 v29, 0x3f167918, v26
	;; [unrolled: 2-line block ×3, first 2 shown]
	v_fmac_f32_e32 v29, 0x3e9e377a, v6
	v_mov_b32_e32 v40, v38
	v_add_f32_e32 v59, v104, v8
	v_sub_f32_e32 v1, v58, v88
	v_sub_f32_e32 v0, v29, v34
	v_fmac_f32_e32 v40, 0xbf737871, v26
	v_sub_f32_e32 v8, v49, v59
	v_add_f32_e32 v22, v58, v88
	v_add_f32_e32 v21, v29, v34
	;; [unrolled: 1-line block ×3, first 2 shown]
	ds_read2_b32 v[58:59], v68 offset0:48 offset1:148
	v_mul_f32_e32 v109, 0x3e9e377a, v98
	v_fmac_f32_e32 v47, 0x3e9e377a, v45
	v_fmac_f32_e32 v40, 0x3f167918, v25
	v_mul_f32_e32 v43, 0xbf737871, v107
	v_mul_f32_e32 v45, 0xbf737871, v98
	ds_read2_b32 v[63:64], v69 offset0:96 offset1:196
	ds_read2_b32 v[98:99], v70 offset0:8 offset1:108
	v_fmac_f32_e32 v40, 0x3e9e377a, v4
	v_fmac_f32_e32 v43, 0xbe9e377a, v96
	;; [unrolled: 1-line block ×3, first 2 shown]
	v_sub_f32_e32 v9, v23, v11
	v_sub_f32_e32 v2, v40, v43
	v_fmac_f32_e32 v38, 0xbf167918, v25
	v_add_f32_e32 v30, v23, v11
	v_add_f32_e32 v23, v40, v43
	v_add_u32_e32 v43, v67, v53
	v_sub_f32_e32 v7, v47, v13
	v_fmac_f32_e32 v38, 0x3e9e377a, v4
	v_fmac_f32_e32 v45, 0x3e9e377a, v94
	v_add_f32_e32 v28, v47, v13
	ds_read_b32 v47, v43
	v_sub_f32_e32 v4, v38, v45
	v_fmac_f32_e32 v27, 0xbf737871, v25
	v_add_f32_e32 v25, v38, v45
	s_waitcnt vmcnt(4)
	v_mul_f32_e32 v11, v50, v74
	s_waitcnt vmcnt(3)
	v_mul_f32_e32 v13, v16, v78
	;; [unrolled: 2-line block ×4, first 2 shown]
	s_waitcnt lgkmcnt(3)
	v_mul_f32_e32 v53, v59, v78
	v_fma_f32 v11, v73, v87, -v11
	v_fma_f32 v13, v77, v59, -v13
	s_waitcnt lgkmcnt(2)
	v_fma_f32 v38, v81, v64, -v38
	s_waitcnt lgkmcnt(1)
	v_fma_f32 v40, v85, v99, -v40
	v_mul_f32_e32 v49, v87, v74
	v_fmac_f32_e32 v53, v16, v77
	v_mul_f32_e32 v16, v99, v86
	v_sub_f32_e32 v34, v11, v13
	v_sub_f32_e32 v43, v38, v40
	v_fmac_f32_e32 v49, v50, v73
	v_mul_f32_e32 v50, v64, v82
	v_fmac_f32_e32 v16, v18, v85
	v_mul_f32_e32 v59, v76, v89
	v_mul_f32_e32 v64, v84, v91
	s_waitcnt vmcnt(0)
	v_mul_f32_e32 v85, v33, v93
	v_mul_f32_e32 v86, v80, v95
	v_add_f32_e32 v45, v34, v43
	v_add_f32_e32 v34, v13, v40
	v_fmac_f32_e32 v59, v46, v75
	v_fmac_f32_e32 v64, v44, v83
	;; [unrolled: 1-line block ×4, first 2 shown]
	s_waitcnt lgkmcnt(0)
	v_fma_f32 v88, -0.5, v34, v47
	v_sub_f32_e32 v34, v59, v64
	v_sub_f32_e32 v43, v85, v86
	v_mul_f32_e32 v87, v72, v97
	v_mul_f32_e32 v33, v48, v33
	v_fmac_f32_e32 v90, 0x3e9e377a, v5
	v_fmac_f32_e32 v109, 0x3f737871, v94
	v_add_f32_e32 v73, v34, v43
	v_fmac_f32_e32 v87, v31, v71
	v_add_f32_e32 v34, v64, v86
	v_fma_f32 v33, v32, v93, -v33
	v_mul_f32_e32 v32, v44, v84
	v_fmac_f32_e32 v92, 0x3e9e377a, v5
	v_sub_f32_e32 v5, v90, v109
	v_fmac_f32_e32 v27, 0xbf167918, v26
	v_add_f32_e32 v26, v90, v109
	v_fma_f32 v90, -0.5, v34, v87
	v_mul_f32_e32 v34, v46, v76
	v_fma_f32 v44, v83, v91, -v32
	v_mul_f32_e32 v32, v42, v80
	v_fma_f32 v46, v75, v89, -v34
	v_fma_f32 v42, v79, v95, -v32
	v_sub_f32_e32 v32, v46, v44
	v_sub_f32_e32 v34, v33, v42
	v_add_f32_e32 v75, v32, v34
	v_sub_f32_e32 v34, v13, v11
	v_sub_f32_e32 v43, v40, v38
	v_add_f32_e32 v43, v34, v43
	v_add_f32_e32 v34, v11, v38
	v_fma_f32 v93, -0.5, v34, v47
	v_sub_f32_e32 v34, v64, v59
	v_sub_f32_e32 v67, v86, v85
	v_add_f32_e32 v67, v34, v67
	v_add_f32_e32 v34, v59, v85
	v_mul_f32_e32 v31, v31, v72
	v_fma_f32 v95, -0.5, v34, v87
	v_sub_f32_e32 v34, v44, v46
	v_sub_f32_e32 v68, v42, v33
	v_fmac_f32_e32 v27, 0x3e9e377a, v6
	v_fmac_f32_e32 v50, v20, v81
	v_fma_f32 v31, v71, v97, -v31
	v_add_f32_e32 v68, v34, v68
	v_add_f32_e32 v34, v46, v33
	v_mul_f32_e32 v108, 0xbe9e377a, v107
	v_sub_f32_e32 v6, v27, v51
	v_add_f32_e32 v27, v27, v51
	v_sub_f32_e32 v20, v49, v50
	v_mov_b32_e32 v51, v88
	v_add_f32_e32 v32, v44, v42
	v_fma_f32 v97, -0.5, v34, v31
	v_fmac_f32_e32 v108, 0x3f737871, v96
	v_fmac_f32_e32 v51, 0xbf737871, v20
	v_sub_f32_e32 v18, v53, v16
	v_sub_f32_e32 v74, v44, v42
	v_fma_f32 v91, -0.5, v32, v31
	v_sub_f32_e32 v72, v64, v86
	v_mov_b32_e32 v94, v93
	v_mov_b32_e32 v96, v95
	;; [unrolled: 1-line block ×3, first 2 shown]
	v_fmac_f32_e32 v88, 0x3f737871, v20
	v_fmac_f32_e32 v51, 0xbf167918, v18
	v_sub_f32_e32 v48, v46, v33
	v_mov_b32_e32 v89, v90
	v_sub_f32_e32 v71, v59, v85
	v_mov_b32_e32 v83, v91
	v_fmac_f32_e32 v94, 0x3f737871, v18
	v_fmac_f32_e32 v96, 0xbf737871, v74
	;; [unrolled: 1-line block ×7, first 2 shown]
	v_mul_u32_u24_e32 v18, 9, v62
	v_fmac_f32_e32 v89, 0x3f737871, v48
	v_fmac_f32_e32 v83, 0xbf737871, v71
	;; [unrolled: 1-line block ×7, first 2 shown]
	v_lshlrev_b32_e32 v18, 3, v18
	v_fmac_f32_e32 v91, 0x3f737871, v71
	v_fmac_f32_e32 v89, 0x3f167918, v74
	;; [unrolled: 1-line block ×7, first 2 shown]
	global_load_dwordx4 v[67:70], v18, s[8:9] offset:2320
	v_fmac_f32_e32 v90, 0xbf167918, v74
	v_fmac_f32_e32 v91, 0x3f167918, v72
	;; [unrolled: 1-line block ×5, first 2 shown]
	global_load_dwordx4 v[71:74], v18, s[8:9] offset:2336
	v_fmac_f32_e32 v91, 0x3e9e377a, v75
	global_load_dwordx4 v[75:78], v18, s[8:9] offset:2368
	global_load_dwordx4 v[79:82], v18, s[8:9] offset:2352
	v_add_f32_e32 v47, v11, v47
	v_add_f32_e32 v47, v13, v47
	v_sub_f32_e32 v3, v92, v108
	v_add_f32_e32 v24, v92, v108
	v_mul_f32_e32 v92, 0xbf4f1bbd, v83
	v_add_f32_e32 v47, v40, v47
	v_sub_f32_e32 v13, v13, v40
	v_mul_f32_e32 v40, 0xbf167918, v83
	global_load_dwordx2 v[83:84], v18, s[8:9] offset:2384
	v_add_f32_e32 v31, v46, v31
	v_add_f32_e32 v31, v44, v31
	;; [unrolled: 1-line block ×4, first 2 shown]
	v_sub_f32_e32 v31, v49, v53
	v_sub_f32_e32 v33, v50, v16
	v_add_f32_e32 v44, v31, v33
	v_add_f32_e32 v31, v53, v16
	v_sub_f32_e32 v18, v53, v49
	v_sub_f32_e32 v33, v16, v50
	v_fma_f32 v103, -0.5, v31, v52
	v_add_f32_e32 v18, v18, v33
	v_add_f32_e32 v33, v49, v50
	v_fmac_f32_e32 v92, 0x3f167918, v89
	v_add_f32_e32 v48, v38, v47
	v_sub_f32_e32 v11, v11, v38
	v_mov_b32_e32 v38, v103
	v_fmac_f32_e32 v40, 0xbf4f1bbd, v89
	v_fma_f32 v89, -0.5, v33, v52
	v_fmac_f32_e32 v38, 0x3f737871, v11
	v_mov_b32_e32 v104, v89
	v_fmac_f32_e32 v103, 0xbf737871, v11
	v_fmac_f32_e32 v38, 0x3f167918, v13
	;; [unrolled: 1-line block ×5, first 2 shown]
	v_add_f32_e32 v13, v52, v49
	v_add_f32_e32 v13, v13, v53
	;; [unrolled: 1-line block ×4, first 2 shown]
	v_fmac_f32_e32 v104, 0x3f167918, v11
	v_fmac_f32_e32 v89, 0xbf167918, v11
	v_mul_f32_e32 v11, 0xbf167918, v91
	v_add_f32_e32 v16, v64, v16
	v_fmac_f32_e32 v103, 0x3e9e377a, v44
	v_fmac_f32_e32 v11, 0x3f4f1bbd, v90
	v_add_f32_e32 v16, v86, v16
	v_fmac_f32_e32 v38, 0x3e9e377a, v44
	v_sub_f32_e32 v44, v103, v11
	v_add_f32_e32 v16, v85, v16
	v_add_f32_e32 v85, v103, v11
	ds_read_b32 v11, v65
	v_fmac_f32_e32 v94, 0xbf167918, v20
	v_fmac_f32_e32 v93, 0x3f167918, v20
	v_mul_f32_e32 v20, 0x3f4f1bbd, v91
	v_fmac_f32_e32 v104, 0x3e9e377a, v18
	v_fmac_f32_e32 v89, 0x3e9e377a, v18
	v_mul_f32_e32 v18, 0xbf737871, v97
	v_fmac_f32_e32 v88, 0x3e9e377a, v45
	v_fmac_f32_e32 v20, 0x3f167918, v90
	;; [unrolled: 1-line block ×3, first 2 shown]
	v_add_f32_e32 v13, v50, v13
	v_fmac_f32_e32 v51, 0x3e9e377a, v45
	v_sub_f32_e32 v45, v88, v20
	v_sub_f32_e32 v42, v89, v18
	v_sub_f32_e32 v46, v13, v16
	v_add_f32_e32 v86, v88, v20
	v_add_f32_e32 v52, v89, v18
	;; [unrolled: 1-line block ×3, first 2 shown]
	ds_read_b32 v16, v60
	ds_read_b32 v18, v66
	;; [unrolled: 1-line block ×3, first 2 shown]
	v_sub_f32_e32 v47, v48, v102
	s_waitcnt vmcnt(4)
	v_mul_f32_e32 v13, v57, v70
	v_sub_f32_e32 v31, v38, v40
	v_add_f32_e32 v88, v48, v102
	v_add_f32_e32 v48, v38, v40
	s_waitcnt lgkmcnt(3)
	v_fma_f32 v38, v69, v11, -v13
	v_mul_f32_e32 v11, v11, v70
	s_waitcnt vmcnt(3)
	v_mul_f32_e32 v13, v15, v74
	v_fma_f32 v40, v73, v58, -v13
	s_waitcnt vmcnt(2)
	v_mul_f32_e32 v59, v19, v78
	s_waitcnt vmcnt(1)
	v_mul_f32_e32 v60, v17, v82
	v_fma_f32 v59, v77, v63, -v59
	v_fma_f32 v60, v81, v98, -v60
	v_mul_f32_e32 v58, v58, v74
	v_sub_f32_e32 v13, v38, v40
	v_sub_f32_e32 v61, v59, v60
	v_fmac_f32_e32 v11, v57, v69
	v_fmac_f32_e32 v58, v15, v73
	s_waitcnt lgkmcnt(1)
	v_mul_f32_e32 v69, v72, v18
	v_mul_f32_e32 v70, v80, v35
	s_waitcnt vmcnt(0)
	v_mul_f32_e32 v73, v84, v41
	v_mul_f32_e32 v74, v76, v39
	v_add_f32_e32 v61, v13, v61
	v_add_f32_e32 v13, v40, v60
	v_fmac_f32_e32 v69, v56, v71
	v_fmac_f32_e32 v70, v10, v79
	;; [unrolled: 1-line block ×4, first 2 shown]
	v_fma_f32 v64, -0.5, v13, v16
	v_mul_f32_e32 v57, v63, v78
	v_sub_f32_e32 v13, v69, v70
	v_sub_f32_e32 v15, v73, v74
	s_waitcnt lgkmcnt(0)
	v_mul_f32_e32 v78, v68, v20
	v_fmac_f32_e32 v57, v19, v77
	v_mul_f32_e32 v65, v98, v82
	v_add_f32_e32 v77, v13, v15
	v_fmac_f32_e32 v78, v55, v67
	v_add_f32_e32 v13, v70, v74
	v_fmac_f32_e32 v65, v17, v81
	v_fma_f32 v81, -0.5, v13, v78
	v_mul_f32_e32 v13, v56, v72
	v_fma_f32 v18, v71, v18, -v13
	v_mul_f32_e32 v13, v14, v84
	v_mul_f32_e32 v10, v10, v80
	;; [unrolled: 1-line block ×3, first 2 shown]
	v_fma_f32 v14, v83, v41, -v13
	v_fma_f32 v10, v79, v35, -v10
	;; [unrolled: 1-line block ×3, first 2 shown]
	v_sub_f32_e32 v13, v18, v10
	v_sub_f32_e32 v15, v14, v12
	v_add_f32_e32 v39, v13, v15
	v_sub_f32_e32 v15, v40, v38
	v_sub_f32_e32 v17, v60, v59
	v_add_f32_e32 v17, v15, v17
	v_add_f32_e32 v15, v38, v59
	v_fma_f32 v75, -0.5, v15, v16
	v_add_f32_e32 v16, v38, v16
	v_sub_f32_e32 v19, v11, v57
	v_mov_b32_e32 v63, v64
	v_mul_f32_e32 v13, v55, v68
	v_add_f32_e32 v16, v40, v16
	v_fmac_f32_e32 v63, 0xbf737871, v19
	v_sub_f32_e32 v66, v58, v65
	v_fma_f32 v20, v67, v20, -v13
	v_mov_b32_e32 v76, v75
	v_sub_f32_e32 v15, v70, v69
	v_sub_f32_e32 v79, v74, v73
	v_fmac_f32_e32 v64, 0x3f737871, v19
	v_add_f32_e32 v16, v60, v16
	v_fmac_f32_e32 v63, 0xbf167918, v66
	v_fmac_f32_e32 v76, 0x3f737871, v66
	v_add_f32_e32 v79, v15, v79
	v_add_f32_e32 v15, v69, v73
	v_fmac_f32_e32 v75, 0xbf737871, v66
	v_fmac_f32_e32 v64, 0x3f167918, v66
	v_add_f32_e32 v66, v59, v16
	v_add_f32_e32 v16, v18, v20
	v_sub_f32_e32 v35, v10, v12
	v_add_f32_e32 v13, v10, v12
	v_fma_f32 v80, -0.5, v15, v78
	v_sub_f32_e32 v15, v10, v18
	v_add_f32_e32 v10, v10, v16
	v_sub_f32_e32 v83, v12, v14
	v_add_f32_e32 v10, v12, v10
	;; [unrolled: 2-line block ×3, first 2 shown]
	v_add_f32_e32 v15, v18, v14
	v_add_f32_e32 v10, v14, v10
	v_sub_f32_e32 v12, v11, v58
	v_sub_f32_e32 v14, v57, v65
	v_fma_f32 v55, -0.5, v13, v20
	v_sub_f32_e32 v67, v69, v73
	v_add_f32_e32 v18, v12, v14
	v_sub_f32_e32 v14, v58, v11
	v_sub_f32_e32 v16, v65, v57
	v_mov_b32_e32 v68, v55
	v_sub_f32_e32 v71, v70, v74
	v_fmac_f32_e32 v55, 0x3f737871, v67
	v_add_f32_e32 v16, v14, v16
	v_add_f32_e32 v14, v11, v57
	;; [unrolled: 1-line block ×3, first 2 shown]
	v_fmac_f32_e32 v63, 0x3e9e377a, v61
	v_mov_b32_e32 v56, v81
	v_fmac_f32_e32 v64, 0x3e9e377a, v61
	v_fmac_f32_e32 v81, 0xbf737871, v41
	;; [unrolled: 1-line block ×3, first 2 shown]
	v_sub_f32_e32 v40, v40, v60
	v_add_f32_e32 v11, v11, v58
	v_mad_u64_u32 v[60:61], s[0:1], s2, v62, 0
	v_fmac_f32_e32 v56, 0x3f737871, v41
	v_mov_b32_e32 v82, v80
	v_fmac_f32_e32 v81, 0xbf167918, v35
	v_fmac_f32_e32 v55, 0x3e9e377a, v39
	v_add_f32_e32 v11, v11, v65
	v_fmac_f32_e32 v56, 0x3f167918, v35
	v_fmac_f32_e32 v68, 0xbf737871, v67
	;; [unrolled: 1-line block ×5, first 2 shown]
	v_mul_f32_e32 v35, 0x3f4f1bbd, v55
	v_add_f32_e32 v12, v58, v65
	v_add_f32_e32 v65, v57, v11
	;; [unrolled: 1-line block ×3, first 2 shown]
	v_fmac_f32_e32 v68, 0xbf167918, v71
	v_fmac_f32_e32 v35, 0x3f167918, v81
	v_add_f32_e32 v11, v70, v11
	v_fmac_f32_e32 v68, 0x3e9e377a, v39
	v_fmac_f32_e32 v76, 0xbf167918, v19
	;; [unrolled: 1-line block ×3, first 2 shown]
	v_sub_f32_e32 v19, v64, v35
	v_sub_f32_e32 v39, v66, v10
	;; [unrolled: 1-line block ×3, first 2 shown]
	v_add_f32_e32 v11, v74, v11
	v_add_f32_e32 v59, v64, v35
	;; [unrolled: 1-line block ×3, first 2 shown]
	v_mov_b32_e32 v10, v61
	v_add_f32_e32 v69, v73, v11
	v_mad_u64_u32 v[10:11], s[0:1], s3, v62, v[10:11]
	v_fma_f32 v84, -0.5, v15, v20
	v_mov_b32_e32 v89, v84
	v_fmac_f32_e32 v89, 0x3f737871, v71
	v_fmac_f32_e32 v89, 0xbf167918, v67
	;; [unrolled: 1-line block ×3, first 2 shown]
	v_mov_b32_e32 v61, v10
	v_mov_b32_e32 v11, s13
	v_add_co_u32_e32 v10, vcc, s12, v36
	v_fmac_f32_e32 v82, 0x3f167918, v41
	v_fmac_f32_e32 v89, 0x3e9e377a, v83
	;; [unrolled: 1-line block ×3, first 2 shown]
	v_addc_co_u32_e32 v11, vcc, v11, v37, vcc
	v_add_u32_e32 v37, 0x12c, v62
	v_fmac_f32_e32 v56, 0x3e9e377a, v77
	v_fmac_f32_e32 v82, 0x3e9e377a, v79
	v_mul_f32_e32 v90, 0xbe9e377a, v89
	v_fmac_f32_e32 v80, 0xbf167918, v41
	v_fmac_f32_e32 v84, 0x3e9e377a, v83
	v_fma_f32 v20, -0.5, v12, v54
	v_mul_f32_e32 v77, 0xbf737871, v89
	v_lshlrev_b64 v[35:36], 3, v[60:61]
	v_mad_u64_u32 v[60:61], s[0:1], s2, v37, 0
	v_mul_f32_e32 v72, 0xbf4f1bbd, v68
	v_fmac_f32_e32 v90, 0x3f737871, v82
	v_fmac_f32_e32 v80, 0x3e9e377a, v79
	v_mul_f32_e32 v79, 0x3e9e377a, v84
	v_mov_b32_e32 v67, v20
	v_mul_f32_e32 v68, 0xbf167918, v68
	v_fmac_f32_e32 v77, 0xbe9e377a, v82
	v_mul_f32_e32 v82, 0xbf737871, v84
	v_fmac_f32_e32 v20, 0xbf737871, v38
	v_fmac_f32_e32 v72, 0x3f167918, v56
	;; [unrolled: 1-line block ×5, first 2 shown]
	v_fma_f32 v56, -0.5, v14, v54
	v_fmac_f32_e32 v82, 0x3e9e377a, v80
	v_fmac_f32_e32 v20, 0xbf167918, v40
	v_mul_f32_e32 v80, 0xbf167918, v55
	v_fmac_f32_e32 v67, 0x3f167918, v40
	v_mov_b32_e32 v71, v56
	v_fmac_f32_e32 v20, 0x3e9e377a, v18
	v_fmac_f32_e32 v80, 0x3f4f1bbd, v81
	;; [unrolled: 1-line block ×5, first 2 shown]
	v_sub_f32_e32 v18, v20, v80
	v_add_f32_e32 v58, v20, v80
	v_mov_b32_e32 v20, v61
	v_sub_f32_e32 v13, v63, v72
	v_fmac_f32_e32 v71, 0x3f167918, v38
	v_fmac_f32_e32 v56, 0xbf167918, v38
	v_sub_f32_e32 v38, v65, v69
	v_add_f32_e32 v41, v63, v72
	v_add_f32_e32 v63, v65, v69
	v_mad_u64_u32 v[65:66], s[0:1], s3, v37, v[20:21]
	v_add_u32_e32 v37, 0x258, v62
	v_sub_f32_e32 v12, v67, v68
	v_add_f32_e32 v40, v67, v68
	v_add_co_u32_e32 v35, vcc, v10, v35
	v_mad_u64_u32 v[66:67], s[0:1], s2, v37, 0
	v_addc_co_u32_e32 v36, vcc, v11, v36, vcc
	v_mov_b32_e32 v61, v65
	global_store_dwordx2 v[35:36], v[63:64], off
	v_lshlrev_b64 v[35:36], 3, v[60:61]
	v_mov_b32_e32 v20, v67
	v_add_co_u32_e32 v35, vcc, v10, v35
	v_mad_u64_u32 v[60:61], s[0:1], s3, v37, v[20:21]
	v_addc_co_u32_e32 v36, vcc, v11, v36, vcc
	v_add_u32_e32 v37, 0x384, v62
	global_store_dwordx2 v[35:36], v[58:59], off
	v_mad_u64_u32 v[58:59], s[0:1], s2, v37, 0
	v_mov_b32_e32 v67, v60
	v_lshlrev_b64 v[35:36], 3, v[66:67]
	v_mov_b32_e32 v20, v59
	v_mad_u64_u32 v[59:60], s[0:1], s3, v37, v[20:21]
	v_add_u32_e32 v37, 0x4b0, v62
	v_fmac_f32_e32 v75, 0x3e9e377a, v17
	v_fmac_f32_e32 v56, 0x3e9e377a, v16
	v_add_co_u32_e32 v35, vcc, v10, v35
	v_mad_u64_u32 v[60:61], s[0:1], s2, v37, 0
	v_fmac_f32_e32 v71, 0x3e9e377a, v16
	v_sub_f32_e32 v16, v56, v82
	v_add_f32_e32 v57, v75, v79
	v_add_f32_e32 v56, v56, v82
	v_addc_co_u32_e32 v36, vcc, v11, v36, vcc
	global_store_dwordx2 v[35:36], v[56:57], off
	v_lshlrev_b64 v[35:36], 3, v[58:59]
	v_fmac_f32_e32 v76, 0x3e9e377a, v17
	v_mov_b32_e32 v20, v61
	v_add_co_u32_e32 v35, vcc, v10, v35
	v_add_f32_e32 v55, v76, v90
	v_add_f32_e32 v54, v71, v77
	v_mad_u64_u32 v[56:57], s[0:1], s3, v37, v[20:21]
	v_addc_co_u32_e32 v36, vcc, v11, v36, vcc
	v_add_u32_e32 v37, 0x5dc, v62
	global_store_dwordx2 v[35:36], v[54:55], off
	v_mad_u64_u32 v[54:55], s[0:1], s2, v37, 0
	v_mov_b32_e32 v61, v56
	v_lshlrev_b64 v[35:36], 3, v[60:61]
	v_mov_b32_e32 v20, v55
	v_mad_u64_u32 v[55:56], s[0:1], s3, v37, v[20:21]
	v_add_co_u32_e32 v35, vcc, v10, v35
	v_addc_co_u32_e32 v36, vcc, v11, v36, vcc
	v_add_u32_e32 v37, 0x708, v62
	v_mad_u64_u32 v[56:57], s[0:1], s2, v37, 0
	global_store_dwordx2 v[35:36], v[40:41], off
	v_lshlrev_b64 v[35:36], 3, v[54:55]
	v_mov_b32_e32 v20, v57
	v_add_co_u32_e32 v35, vcc, v10, v35
	v_addc_co_u32_e32 v36, vcc, v11, v36, vcc
	global_store_dwordx2 v[35:36], v[38:39], off
	v_add_u32_e32 v39, 0x834, v62
	v_mad_u64_u32 v[40:41], s[0:1], s3, v37, v[20:21]
	v_mad_u64_u32 v[37:38], s[0:1], s2, v39, 0
	v_add_u32_e32 v41, 0x960, v62
	v_mov_b32_e32 v57, v40
	v_mov_b32_e32 v20, v38
	v_mad_u64_u32 v[38:39], s[0:1], s3, v39, v[20:21]
	v_mad_u64_u32 v[39:40], s[0:1], s2, v41, 0
	v_lshlrev_b64 v[35:36], 3, v[56:57]
	v_sub_f32_e32 v17, v75, v79
	v_add_co_u32_e32 v35, vcc, v10, v35
	v_addc_co_u32_e32 v36, vcc, v11, v36, vcc
	v_mov_b32_e32 v20, v40
	global_store_dwordx2 v[35:36], v[18:19], off
	v_mad_u64_u32 v[35:36], s[0:1], s3, v41, v[20:21]
	v_lshlrev_b64 v[18:19], 3, v[37:38]
	v_add_u32_e32 v20, 0xa8c, v62
	v_add_co_u32_e32 v18, vcc, v10, v18
	v_addc_co_u32_e32 v19, vcc, v11, v19, vcc
	v_mov_b32_e32 v40, v35
	global_store_dwordx2 v[18:19], v[16:17], off
	v_lshlrev_b64 v[16:17], 3, v[39:40]
	v_mad_u64_u32 v[18:19], s[0:1], s2, v20, 0
	v_add_co_u32_e32 v16, vcc, v10, v16
	v_sub_f32_e32 v15, v76, v90
	v_sub_f32_e32 v14, v71, v77
	v_addc_co_u32_e32 v17, vcc, v11, v17, vcc
	global_store_dwordx2 v[16:17], v[14:15], off
	v_mov_b32_e32 v14, v19
	v_mad_u64_u32 v[14:15], s[0:1], s3, v20, v[14:15]
	v_add_u32_e32 v20, 0x64, v62
	v_mad_u64_u32 v[15:16], s[0:1], s2, v20, 0
	v_mov_b32_e32 v19, v14
	v_lshlrev_b64 v[17:18], 3, v[18:19]
	v_mov_b32_e32 v14, v16
	v_mad_u64_u32 v[19:20], s[0:1], s3, v20, v[14:15]
	v_add_co_u32_e32 v16, vcc, v10, v17
	v_addc_co_u32_e32 v17, vcc, v11, v18, vcc
	global_store_dwordx2 v[16:17], v[12:13], off
	v_mov_b32_e32 v16, v19
	v_lshlrev_b64 v[12:13], 3, v[15:16]
	v_add_u32_e32 v16, 0x190, v62
	v_mad_u64_u32 v[14:15], s[0:1], s2, v16, 0
	v_add_u32_e32 v18, 0x2bc, v62
	v_add_co_u32_e32 v12, vcc, v10, v12
	v_mad_u64_u32 v[15:16], s[0:1], s3, v16, v[15:16]
	v_mad_u64_u32 v[16:17], s[0:1], s2, v18, 0
	v_addc_co_u32_e32 v13, vcc, v11, v13, vcc
	global_store_dwordx2 v[12:13], v[87:88], off
	v_lshlrev_b64 v[12:13], 3, v[14:15]
	v_mov_b32_e32 v14, v17
	v_mad_u64_u32 v[14:15], s[0:1], s3, v18, v[14:15]
	v_add_co_u32_e32 v12, vcc, v10, v12
	v_addc_co_u32_e32 v13, vcc, v11, v13, vcc
	v_mov_b32_e32 v17, v14
	global_store_dwordx2 v[12:13], v[85:86], off
	v_lshlrev_b64 v[12:13], 3, v[16:17]
	v_add_u32_e32 v16, 0x3e8, v62
	v_mad_u64_u32 v[14:15], s[0:1], s2, v16, 0
	v_add_u32_e32 v18, 0x514, v62
	v_mul_f32_e32 v101, 0x3e9e377a, v97
	v_mad_u64_u32 v[15:16], s[0:1], s3, v16, v[15:16]
	v_mad_u64_u32 v[16:17], s[0:1], s2, v18, 0
	v_fmac_f32_e32 v93, 0x3e9e377a, v43
	v_fmac_f32_e32 v101, 0x3f737871, v95
	v_add_co_u32_e32 v12, vcc, v10, v12
	v_add_f32_e32 v53, v93, v101
	v_addc_co_u32_e32 v13, vcc, v11, v13, vcc
	global_store_dwordx2 v[12:13], v[52:53], off
	v_lshlrev_b64 v[12:13], 3, v[14:15]
	v_mov_b32_e32 v14, v17
	v_mad_u64_u32 v[14:15], s[0:1], s3, v18, v[14:15]
	v_mul_f32_e32 v100, 0xbe9e377a, v99
	v_mul_f32_e32 v99, 0xbf737871, v99
	v_fmac_f32_e32 v94, 0x3e9e377a, v43
	v_fmac_f32_e32 v100, 0x3f737871, v96
	;; [unrolled: 1-line block ×3, first 2 shown]
	v_add_co_u32_e32 v12, vcc, v10, v12
	v_sub_f32_e32 v32, v51, v92
	v_add_f32_e32 v49, v51, v92
	v_add_f32_e32 v51, v94, v100
	;; [unrolled: 1-line block ×3, first 2 shown]
	v_addc_co_u32_e32 v13, vcc, v11, v13, vcc
	v_mov_b32_e32 v17, v14
	global_store_dwordx2 v[12:13], v[50:51], off
	v_lshlrev_b64 v[12:13], 3, v[16:17]
	v_add_u32_e32 v16, 0x640, v62
	v_mad_u64_u32 v[14:15], s[0:1], s2, v16, 0
	v_add_u32_e32 v18, 0x76c, v62
	v_add_co_u32_e32 v12, vcc, v10, v12
	v_mad_u64_u32 v[15:16], s[0:1], s3, v16, v[15:16]
	v_mad_u64_u32 v[16:17], s[0:1], s2, v18, 0
	v_addc_co_u32_e32 v13, vcc, v11, v13, vcc
	global_store_dwordx2 v[12:13], v[48:49], off
	v_lshlrev_b64 v[12:13], 3, v[14:15]
	v_mov_b32_e32 v14, v17
	v_mad_u64_u32 v[14:15], s[0:1], s3, v18, v[14:15]
	v_add_co_u32_e32 v12, vcc, v10, v12
	v_addc_co_u32_e32 v13, vcc, v11, v13, vcc
	v_mov_b32_e32 v17, v14
	global_store_dwordx2 v[12:13], v[46:47], off
	v_lshlrev_b64 v[12:13], 3, v[16:17]
	v_add_u32_e32 v16, 0x898, v62
	v_mad_u64_u32 v[14:15], s[0:1], s2, v16, 0
	v_add_u32_e32 v18, 0x9c4, v62
	v_add_co_u32_e32 v12, vcc, v10, v12
	v_mad_u64_u32 v[15:16], s[0:1], s3, v16, v[15:16]
	v_mad_u64_u32 v[16:17], s[0:1], s2, v18, 0
	v_addc_co_u32_e32 v13, vcc, v11, v13, vcc
	global_store_dwordx2 v[12:13], v[44:45], off
	v_lshlrev_b64 v[12:13], 3, v[14:15]
	v_mov_b32_e32 v14, v17
	v_mad_u64_u32 v[14:15], s[0:1], s3, v18, v[14:15]
	v_add_co_u32_e32 v12, vcc, v10, v12
	v_sub_f32_e32 v43, v93, v101
	v_addc_co_u32_e32 v13, vcc, v11, v13, vcc
	v_mov_b32_e32 v17, v14
	global_store_dwordx2 v[12:13], v[42:43], off
	v_lshlrev_b64 v[12:13], 3, v[16:17]
	v_add_u32_e32 v16, 0xaf0, v62
	v_mad_u64_u32 v[14:15], s[0:1], s2, v16, 0
	v_add_co_u32_e32 v12, vcc, v10, v12
	v_mad_u64_u32 v[15:16], s[0:1], s3, v16, v[15:16]
	v_add_u32_e32 v16, 0xc8, v62
	s_mov_b32 s0, 0x1b4e81b5
	v_mul_hi_u32 v17, v16, s0
	v_sub_f32_e32 v34, v94, v100
	v_sub_f32_e32 v33, v104, v99
	v_addc_co_u32_e32 v13, vcc, v11, v13, vcc
	global_store_dwordx2 v[12:13], v[33:34], off
	v_lshlrev_b64 v[12:13], 3, v[14:15]
	v_lshrrev_b32_e32 v14, 5, v17
	v_mad_u32_u24 v18, v14, s4, v16
	v_mad_u64_u32 v[14:15], s[0:1], s2, v18, 0
	v_add_u32_e32 v19, 0x12c, v18
	v_add_co_u32_e32 v12, vcc, v10, v12
	v_mad_u64_u32 v[15:16], s[0:1], s3, v18, v[15:16]
	v_mad_u64_u32 v[16:17], s[0:1], s2, v19, 0
	v_addc_co_u32_e32 v13, vcc, v11, v13, vcc
	global_store_dwordx2 v[12:13], v[31:32], off
	v_lshlrev_b64 v[12:13], 3, v[14:15]
	v_mov_b32_e32 v14, v17
	v_mad_u64_u32 v[14:15], s[0:1], s3, v19, v[14:15]
	v_add_co_u32_e32 v12, vcc, v10, v12
	v_addc_co_u32_e32 v13, vcc, v11, v13, vcc
	v_mov_b32_e32 v17, v14
	global_store_dwordx2 v[12:13], v[29:30], off
	v_lshlrev_b64 v[12:13], 3, v[16:17]
	v_add_u32_e32 v16, 0x258, v18
	v_mad_u64_u32 v[14:15], s[0:1], s2, v16, 0
	v_add_u32_e32 v19, 0x384, v18
	v_add_co_u32_e32 v12, vcc, v10, v12
	v_mad_u64_u32 v[15:16], s[0:1], s3, v16, v[15:16]
	v_mad_u64_u32 v[16:17], s[0:1], s2, v19, 0
	v_addc_co_u32_e32 v13, vcc, v11, v13, vcc
	global_store_dwordx2 v[12:13], v[27:28], off
	v_lshlrev_b64 v[12:13], 3, v[14:15]
	v_mov_b32_e32 v14, v17
	v_mad_u64_u32 v[14:15], s[0:1], s3, v19, v[14:15]
	v_add_co_u32_e32 v12, vcc, v10, v12
	v_addc_co_u32_e32 v13, vcc, v11, v13, vcc
	v_mov_b32_e32 v17, v14
	global_store_dwordx2 v[12:13], v[25:26], off
	v_lshlrev_b64 v[12:13], 3, v[16:17]
	v_add_u32_e32 v16, 0x4b0, v18
	v_mad_u64_u32 v[14:15], s[0:1], s2, v16, 0
	v_add_u32_e32 v19, 0x5dc, v18
	v_add_co_u32_e32 v12, vcc, v10, v12
	v_mad_u64_u32 v[15:16], s[0:1], s3, v16, v[15:16]
	v_mad_u64_u32 v[16:17], s[0:1], s2, v19, 0
	v_addc_co_u32_e32 v13, vcc, v11, v13, vcc
	global_store_dwordx2 v[12:13], v[23:24], off
	v_lshlrev_b64 v[12:13], 3, v[14:15]
	v_mov_b32_e32 v14, v17
	v_mad_u64_u32 v[14:15], s[0:1], s3, v19, v[14:15]
	v_add_co_u32_e32 v12, vcc, v10, v12
	v_addc_co_u32_e32 v13, vcc, v11, v13, vcc
	v_mov_b32_e32 v17, v14
	global_store_dwordx2 v[12:13], v[21:22], off
	v_lshlrev_b64 v[12:13], 3, v[16:17]
	v_add_u32_e32 v16, 0x708, v18
	v_mad_u64_u32 v[14:15], s[0:1], s2, v16, 0
	v_add_u32_e32 v19, 0x834, v18
	v_add_co_u32_e32 v12, vcc, v10, v12
	v_mad_u64_u32 v[15:16], s[0:1], s3, v16, v[15:16]
	v_mad_u64_u32 v[16:17], s[0:1], s2, v19, 0
	v_addc_co_u32_e32 v13, vcc, v11, v13, vcc
	global_store_dwordx2 v[12:13], v[8:9], off
	v_mov_b32_e32 v12, v17
	v_mad_u64_u32 v[12:13], s[0:1], s3, v19, v[12:13]
	v_lshlrev_b64 v[8:9], 3, v[14:15]
	v_add_u32_e32 v15, 0xa8c, v18
	v_add_co_u32_e32 v8, vcc, v10, v8
	v_addc_co_u32_e32 v9, vcc, v11, v9, vcc
	v_mov_b32_e32 v17, v12
	v_add_u32_e32 v12, 0x960, v18
	global_store_dwordx2 v[8:9], v[6:7], off
	v_mad_u64_u32 v[8:9], s[0:1], s2, v12, 0
	v_lshlrev_b64 v[6:7], 3, v[16:17]
	v_mad_u64_u32 v[12:13], s[0:1], s3, v12, v[9:10]
	v_mad_u64_u32 v[13:14], s[0:1], s2, v15, 0
	v_add_co_u32_e32 v6, vcc, v10, v6
	v_addc_co_u32_e32 v7, vcc, v11, v7, vcc
	global_store_dwordx2 v[6:7], v[4:5], off
	v_mov_b32_e32 v6, v14
	v_mov_b32_e32 v9, v12
	v_mad_u64_u32 v[6:7], s[0:1], s3, v15, v[6:7]
	v_lshlrev_b64 v[4:5], 3, v[8:9]
	v_add_co_u32_e32 v4, vcc, v10, v4
	v_addc_co_u32_e32 v5, vcc, v11, v5, vcc
	v_mov_b32_e32 v14, v6
	global_store_dwordx2 v[4:5], v[2:3], off
	v_lshlrev_b64 v[2:3], 3, v[13:14]
	v_add_co_u32_e32 v2, vcc, v10, v2
	v_addc_co_u32_e32 v3, vcc, v11, v3, vcc
	global_store_dwordx2 v[2:3], v[0:1], off
.LBB0_15:
	s_endpgm
	.section	.rodata,"a",@progbits
	.p2align	6, 0x0
	.amdhsa_kernel fft_rtc_back_len3000_factors_10_3_10_10_wgs_100_tpt_100_halfLds_sp_ip_CI_sbrr_dirReg
		.amdhsa_group_segment_fixed_size 0
		.amdhsa_private_segment_fixed_size 0
		.amdhsa_kernarg_size 88
		.amdhsa_user_sgpr_count 6
		.amdhsa_user_sgpr_private_segment_buffer 1
		.amdhsa_user_sgpr_dispatch_ptr 0
		.amdhsa_user_sgpr_queue_ptr 0
		.amdhsa_user_sgpr_kernarg_segment_ptr 1
		.amdhsa_user_sgpr_dispatch_id 0
		.amdhsa_user_sgpr_flat_scratch_init 0
		.amdhsa_user_sgpr_private_segment_size 0
		.amdhsa_uses_dynamic_stack 0
		.amdhsa_system_sgpr_private_segment_wavefront_offset 0
		.amdhsa_system_sgpr_workgroup_id_x 1
		.amdhsa_system_sgpr_workgroup_id_y 0
		.amdhsa_system_sgpr_workgroup_id_z 0
		.amdhsa_system_sgpr_workgroup_info 0
		.amdhsa_system_vgpr_workitem_id 0
		.amdhsa_next_free_vgpr 138
		.amdhsa_next_free_sgpr 24
		.amdhsa_reserve_vcc 1
		.amdhsa_reserve_flat_scratch 0
		.amdhsa_float_round_mode_32 0
		.amdhsa_float_round_mode_16_64 0
		.amdhsa_float_denorm_mode_32 3
		.amdhsa_float_denorm_mode_16_64 3
		.amdhsa_dx10_clamp 1
		.amdhsa_ieee_mode 1
		.amdhsa_fp16_overflow 0
		.amdhsa_exception_fp_ieee_invalid_op 0
		.amdhsa_exception_fp_denorm_src 0
		.amdhsa_exception_fp_ieee_div_zero 0
		.amdhsa_exception_fp_ieee_overflow 0
		.amdhsa_exception_fp_ieee_underflow 0
		.amdhsa_exception_fp_ieee_inexact 0
		.amdhsa_exception_int_div_zero 0
	.end_amdhsa_kernel
	.text
.Lfunc_end0:
	.size	fft_rtc_back_len3000_factors_10_3_10_10_wgs_100_tpt_100_halfLds_sp_ip_CI_sbrr_dirReg, .Lfunc_end0-fft_rtc_back_len3000_factors_10_3_10_10_wgs_100_tpt_100_halfLds_sp_ip_CI_sbrr_dirReg
                                        ; -- End function
	.section	.AMDGPU.csdata,"",@progbits
; Kernel info:
; codeLenInByte = 18404
; NumSgprs: 28
; NumVgprs: 138
; ScratchSize: 0
; MemoryBound: 0
; FloatMode: 240
; IeeeMode: 1
; LDSByteSize: 0 bytes/workgroup (compile time only)
; SGPRBlocks: 3
; VGPRBlocks: 34
; NumSGPRsForWavesPerEU: 28
; NumVGPRsForWavesPerEU: 138
; Occupancy: 1
; WaveLimiterHint : 1
; COMPUTE_PGM_RSRC2:SCRATCH_EN: 0
; COMPUTE_PGM_RSRC2:USER_SGPR: 6
; COMPUTE_PGM_RSRC2:TRAP_HANDLER: 0
; COMPUTE_PGM_RSRC2:TGID_X_EN: 1
; COMPUTE_PGM_RSRC2:TGID_Y_EN: 0
; COMPUTE_PGM_RSRC2:TGID_Z_EN: 0
; COMPUTE_PGM_RSRC2:TIDIG_COMP_CNT: 0
	.type	__hip_cuid_be1f62edabfb28e8,@object ; @__hip_cuid_be1f62edabfb28e8
	.section	.bss,"aw",@nobits
	.globl	__hip_cuid_be1f62edabfb28e8
__hip_cuid_be1f62edabfb28e8:
	.byte	0                               ; 0x0
	.size	__hip_cuid_be1f62edabfb28e8, 1

	.ident	"AMD clang version 19.0.0git (https://github.com/RadeonOpenCompute/llvm-project roc-6.4.0 25133 c7fe45cf4b819c5991fe208aaa96edf142730f1d)"
	.section	".note.GNU-stack","",@progbits
	.addrsig
	.addrsig_sym __hip_cuid_be1f62edabfb28e8
	.amdgpu_metadata
---
amdhsa.kernels:
  - .args:
      - .actual_access:  read_only
        .address_space:  global
        .offset:         0
        .size:           8
        .value_kind:     global_buffer
      - .offset:         8
        .size:           8
        .value_kind:     by_value
      - .actual_access:  read_only
        .address_space:  global
        .offset:         16
        .size:           8
        .value_kind:     global_buffer
      - .actual_access:  read_only
        .address_space:  global
        .offset:         24
        .size:           8
        .value_kind:     global_buffer
      - .offset:         32
        .size:           8
        .value_kind:     by_value
      - .actual_access:  read_only
        .address_space:  global
        .offset:         40
        .size:           8
        .value_kind:     global_buffer
      - .actual_access:  read_only
        .address_space:  global
        .offset:         48
        .size:           8
        .value_kind:     global_buffer
      - .offset:         56
        .size:           4
        .value_kind:     by_value
      - .actual_access:  read_only
        .address_space:  global
        .offset:         64
        .size:           8
        .value_kind:     global_buffer
      - .actual_access:  read_only
        .address_space:  global
        .offset:         72
        .size:           8
        .value_kind:     global_buffer
      - .address_space:  global
        .offset:         80
        .size:           8
        .value_kind:     global_buffer
    .group_segment_fixed_size: 0
    .kernarg_segment_align: 8
    .kernarg_segment_size: 88
    .language:       OpenCL C
    .language_version:
      - 2
      - 0
    .max_flat_workgroup_size: 100
    .name:           fft_rtc_back_len3000_factors_10_3_10_10_wgs_100_tpt_100_halfLds_sp_ip_CI_sbrr_dirReg
    .private_segment_fixed_size: 0
    .sgpr_count:     28
    .sgpr_spill_count: 0
    .symbol:         fft_rtc_back_len3000_factors_10_3_10_10_wgs_100_tpt_100_halfLds_sp_ip_CI_sbrr_dirReg.kd
    .uniform_work_group_size: 1
    .uses_dynamic_stack: false
    .vgpr_count:     138
    .vgpr_spill_count: 0
    .wavefront_size: 64
amdhsa.target:   amdgcn-amd-amdhsa--gfx906
amdhsa.version:
  - 1
  - 2
...

	.end_amdgpu_metadata
